;; amdgpu-corpus repo=ROCm/rocFFT kind=compiled arch=gfx1030 opt=O3
	.text
	.amdgcn_target "amdgcn-amd-amdhsa--gfx1030"
	.amdhsa_code_object_version 6
	.protected	fft_rtc_back_len289_factors_17_17_wgs_119_tpt_17_dp_op_CI_CI_sbcc_dirReg ; -- Begin function fft_rtc_back_len289_factors_17_17_wgs_119_tpt_17_dp_op_CI_CI_sbcc_dirReg
	.globl	fft_rtc_back_len289_factors_17_17_wgs_119_tpt_17_dp_op_CI_CI_sbcc_dirReg
	.p2align	8
	.type	fft_rtc_back_len289_factors_17_17_wgs_119_tpt_17_dp_op_CI_CI_sbcc_dirReg,@function
fft_rtc_back_len289_factors_17_17_wgs_119_tpt_17_dp_op_CI_CI_sbcc_dirReg: ; @fft_rtc_back_len289_factors_17_17_wgs_119_tpt_17_dp_op_CI_CI_sbcc_dirReg
; %bb.0:
	s_clause 0x1
	s_load_dwordx4 s[16:19], s[4:5], 0x18
	s_load_dwordx2 s[24:25], s[4:5], 0x28
	s_mov_b64 s[66:67], s[2:3]
	s_mov_b64 s[64:65], s[0:1]
	;; [unrolled: 1-line block ×3, first 2 shown]
	s_add_u32 s64, s64, s7
	s_addc_u32 s65, s65, 0
	s_waitcnt lgkmcnt(0)
	s_load_dwordx2 s[22:23], s[16:17], 0x8
	s_waitcnt lgkmcnt(0)
	s_add_u32 s0, s22, -1
	s_addc_u32 s1, s23, -1
	s_add_u32 s2, 0, 0x92481000
	s_addc_u32 s3, 0, 0x64
	s_mul_hi_u32 s8, s2, -7
	s_add_i32 s3, s3, 0x249248c0
	s_sub_i32 s8, s8, s2
	s_mul_i32 s10, s3, -7
	s_mul_i32 s7, s2, -7
	s_add_i32 s8, s8, s10
	s_mul_hi_u32 s9, s2, s7
	s_mul_i32 s12, s2, s8
	s_mul_hi_u32 s10, s2, s8
	s_mul_hi_u32 s11, s3, s7
	s_mul_i32 s7, s3, s7
	s_add_u32 s9, s9, s12
	s_addc_u32 s10, 0, s10
	s_mul_hi_u32 s13, s3, s8
	s_add_u32 s7, s9, s7
	s_mul_i32 s8, s3, s8
	s_addc_u32 s7, s10, s11
	s_addc_u32 s9, s13, 0
	s_add_u32 s7, s7, s8
	v_add_co_u32 v1, s2, s2, s7
	s_addc_u32 s7, 0, s9
	s_cmp_lg_u32 s2, 0
	s_addc_u32 s2, s3, s7
	v_readfirstlane_b32 s3, v1
	s_mul_i32 s8, s0, s2
	s_mul_hi_u32 s7, s0, s2
	s_mul_hi_u32 s9, s1, s2
	s_mul_i32 s2, s1, s2
	s_mul_hi_u32 s10, s0, s3
	s_mul_hi_u32 s11, s1, s3
	s_mul_i32 s3, s1, s3
	s_add_u32 s8, s10, s8
	s_addc_u32 s7, 0, s7
	s_add_u32 s3, s8, s3
	s_addc_u32 s3, s7, s11
	s_addc_u32 s7, s9, 0
	s_add_u32 s2, s3, s2
	s_addc_u32 s3, 0, s7
	s_mul_i32 s8, s2, 7
	s_add_u32 s7, s2, 1
	v_sub_co_u32 v1, s0, s0, s8
	s_mul_hi_u32 s8, s2, 7
	s_addc_u32 s9, s3, 0
	s_mul_i32 s10, s3, 7
	v_sub_co_u32 v2, s11, v1, 7
	s_add_u32 s12, s2, 2
	s_addc_u32 s13, s3, 0
	s_add_i32 s8, s8, s10
	s_cmp_lg_u32 s0, 0
	v_readfirstlane_b32 s0, v2
	s_subb_u32 s1, s1, s8
	s_cmp_lg_u32 s11, 0
	s_subb_u32 s8, s1, 0
	s_cmp_gt_u32 s0, 6
	s_cselect_b32 s0, -1, 0
	s_cmp_eq_u32 s8, 0
	v_readfirstlane_b32 s8, v1
	s_cselect_b32 s0, s0, -1
	s_cmp_lg_u32 s0, 0
	s_cselect_b32 s0, s12, s7
	s_cselect_b32 s9, s13, s9
	s_cmp_gt_u32 s8, 6
	s_cselect_b32 s7, -1, 0
	s_cmp_eq_u32 s1, 0
	s_cselect_b32 s1, s7, -1
	s_mov_b32 s7, 0
	s_cmp_lg_u32 s1, 0
	s_cselect_b32 s0, s0, s2
	s_cselect_b32 s1, s9, s3
	s_add_u32 s28, s0, 1
	s_addc_u32 s29, s1, 0
	v_cmp_lt_u64_e64 s0, s[6:7], s[28:29]
	s_and_b32 vcc_lo, exec_lo, s0
	s_cbranch_vccnz .LBB0_2
; %bb.1:
	v_cvt_f32_u32_e32 v1, s28
	s_sub_i32 s1, 0, s28
	s_mov_b32 s21, s7
	v_rcp_iflag_f32_e32 v1, v1
	v_mul_f32_e32 v1, 0x4f7ffffe, v1
	v_cvt_u32_f32_e32 v1, v1
	v_readfirstlane_b32 s0, v1
	s_mul_i32 s1, s1, s0
	s_mul_hi_u32 s1, s0, s1
	s_add_i32 s0, s0, s1
	s_mul_hi_u32 s0, s6, s0
	s_mul_i32 s1, s0, s28
	s_add_i32 s2, s0, 1
	s_sub_i32 s1, s6, s1
	s_sub_i32 s3, s1, s28
	s_cmp_ge_u32 s1, s28
	s_cselect_b32 s0, s2, s0
	s_cselect_b32 s1, s3, s1
	s_add_i32 s2, s0, 1
	s_cmp_ge_u32 s1, s28
	s_cselect_b32 s20, s2, s0
.LBB0_2:
	s_load_dwordx4 s[12:15], s[18:19], 0x0
	s_load_dwordx4 s[0:3], s[24:25], 0x0
	s_clause 0x1
	s_load_dwordx2 s[30:31], s[4:5], 0x10
	s_load_dwordx2 s[56:57], s[4:5], 0x0
	s_mul_i32 s8, s20, s29
	s_mul_hi_u32 s9, s20, s28
	s_mul_i32 s10, s20, s28
	s_add_i32 s9, s9, s8
	s_sub_u32 s46, s6, s10
	s_subb_u32 s8, 0, s9
	s_mul_hi_u32 s33, s46, 7
	s_mul_i32 s26, s8, 7
	s_load_dwordx4 s[8:11], s[4:5], 0x60
	s_add_i32 s33, s33, s26
	s_mul_i32 s46, s46, 7
	s_waitcnt lgkmcnt(0)
	s_mul_i32 s4, s14, s33
	s_mul_hi_u32 s5, s14, s46
	v_cmp_lt_u64_e64 s36, s[30:31], 3
	s_mul_i32 s27, s2, s33
	s_mul_hi_u32 s34, s2, s46
	s_mul_i32 s26, s15, s46
	s_mul_i32 s35, s3, s46
	s_add_i32 s4, s5, s4
	s_add_i32 s5, s34, s27
	;; [unrolled: 1-line block ×3, first 2 shown]
	s_mul_i32 s26, s14, s46
	s_add_i32 s5, s5, s35
	s_and_b32 vcc_lo, exec_lo, s36
	s_mul_i32 s4, s2, s46
	s_cbranch_vccnz .LBB0_12
; %bb.3:
	s_add_u32 s34, s24, 16
	s_addc_u32 s35, s25, 0
	s_add_u32 s36, s18, 16
	s_addc_u32 s37, s19, 0
	;; [unrolled: 2-line block ×3, first 2 shown]
	s_mov_b64 s[38:39], 2
	s_mov_b32 s40, 0
.LBB0_4:                                ; =>This Inner Loop Header: Depth=1
	s_load_dwordx2 s[42:43], s[16:17], 0x0
	s_waitcnt lgkmcnt(0)
	s_or_b64 s[44:45], s[20:21], s[42:43]
	s_mov_b32 s41, s45
                                        ; implicit-def: $sgpr44_sgpr45
	s_cmp_lg_u64 s[40:41], 0
	s_mov_b32 s41, -1
	s_cbranch_scc0 .LBB0_6
; %bb.5:                                ;   in Loop: Header=BB0_4 Depth=1
	v_cvt_f32_u32_e32 v1, s42
	v_cvt_f32_u32_e32 v2, s43
	s_sub_u32 s45, 0, s42
	s_subb_u32 s47, 0, s43
	v_fmac_f32_e32 v1, 0x4f800000, v2
	v_rcp_f32_e32 v1, v1
	v_mul_f32_e32 v1, 0x5f7ffffc, v1
	v_mul_f32_e32 v2, 0x2f800000, v1
	v_trunc_f32_e32 v2, v2
	v_fmac_f32_e32 v1, 0xcf800000, v2
	v_cvt_u32_f32_e32 v2, v2
	v_cvt_u32_f32_e32 v1, v1
	v_readfirstlane_b32 s41, v2
	v_readfirstlane_b32 s44, v1
	s_mul_i32 s48, s45, s41
	s_mul_hi_u32 s50, s45, s44
	s_mul_i32 s49, s47, s44
	s_add_i32 s48, s50, s48
	s_mul_i32 s51, s45, s44
	s_add_i32 s48, s48, s49
	s_mul_hi_u32 s50, s44, s51
	s_mul_hi_u32 s52, s41, s51
	s_mul_i32 s49, s41, s51
	s_mul_hi_u32 s51, s44, s48
	s_mul_i32 s44, s44, s48
	s_mul_hi_u32 s53, s41, s48
	s_add_u32 s44, s50, s44
	s_addc_u32 s50, 0, s51
	s_add_u32 s44, s44, s49
	s_mul_i32 s48, s41, s48
	s_addc_u32 s44, s50, s52
	s_addc_u32 s49, s53, 0
	s_add_u32 s44, s44, s48
	s_addc_u32 s48, 0, s49
	v_add_co_u32 v1, s44, v1, s44
	s_cmp_lg_u32 s44, 0
	s_addc_u32 s41, s41, s48
	v_readfirstlane_b32 s44, v1
	s_mul_i32 s48, s45, s41
	s_mul_hi_u32 s49, s45, s44
	s_mul_i32 s47, s47, s44
	s_add_i32 s48, s49, s48
	s_mul_i32 s45, s45, s44
	s_add_i32 s48, s48, s47
	s_mul_hi_u32 s49, s41, s45
	s_mul_i32 s50, s41, s45
	s_mul_hi_u32 s45, s44, s45
	s_mul_hi_u32 s51, s44, s48
	s_mul_i32 s44, s44, s48
	s_mul_hi_u32 s47, s41, s48
	s_add_u32 s44, s45, s44
	s_addc_u32 s45, 0, s51
	s_add_u32 s44, s44, s50
	s_mul_i32 s48, s41, s48
	s_addc_u32 s44, s45, s49
	s_addc_u32 s45, s47, 0
	s_add_u32 s44, s44, s48
	s_addc_u32 s45, 0, s45
	v_add_co_u32 v1, s44, v1, s44
	s_cmp_lg_u32 s44, 0
	s_addc_u32 s41, s41, s45
	v_readfirstlane_b32 s44, v1
	s_mul_i32 s47, s20, s41
	s_mul_hi_u32 s45, s20, s41
	s_mul_hi_u32 s48, s21, s41
	s_mul_i32 s41, s21, s41
	s_mul_hi_u32 s49, s20, s44
	s_mul_hi_u32 s50, s21, s44
	s_mul_i32 s44, s21, s44
	s_add_u32 s47, s49, s47
	s_addc_u32 s45, 0, s45
	s_add_u32 s44, s47, s44
	s_addc_u32 s44, s45, s50
	s_addc_u32 s45, s48, 0
	s_add_u32 s44, s44, s41
	s_addc_u32 s45, 0, s45
	s_mul_hi_u32 s41, s42, s44
	s_mul_i32 s48, s42, s45
	s_mul_i32 s49, s42, s44
	s_add_i32 s41, s41, s48
	v_sub_co_u32 v1, s48, s20, s49
	s_mul_i32 s47, s43, s44
	s_add_i32 s41, s41, s47
	v_sub_co_u32 v2, s49, v1, s42
	s_sub_i32 s47, s21, s41
	s_cmp_lg_u32 s48, 0
	s_subb_u32 s47, s47, s43
	s_cmp_lg_u32 s49, 0
	v_readfirstlane_b32 s49, v2
	s_subb_u32 s47, s47, 0
	s_cmp_ge_u32 s47, s43
	s_cselect_b32 s50, -1, 0
	s_cmp_ge_u32 s49, s42
	s_cselect_b32 s49, -1, 0
	s_cmp_eq_u32 s47, s43
	s_cselect_b32 s47, s49, s50
	s_add_u32 s49, s44, 1
	s_addc_u32 s50, s45, 0
	s_add_u32 s51, s44, 2
	s_addc_u32 s52, s45, 0
	s_cmp_lg_u32 s47, 0
	s_cselect_b32 s47, s51, s49
	s_cselect_b32 s49, s52, s50
	s_cmp_lg_u32 s48, 0
	v_readfirstlane_b32 s48, v1
	s_subb_u32 s41, s21, s41
	s_cmp_ge_u32 s41, s43
	s_cselect_b32 s50, -1, 0
	s_cmp_ge_u32 s48, s42
	s_cselect_b32 s48, -1, 0
	s_cmp_eq_u32 s41, s43
	s_cselect_b32 s41, s48, s50
	s_cmp_lg_u32 s41, 0
	s_mov_b32 s41, 0
	s_cselect_b32 s45, s49, s45
	s_cselect_b32 s44, s47, s44
.LBB0_6:                                ;   in Loop: Header=BB0_4 Depth=1
	s_andn2_b32 vcc_lo, exec_lo, s41
	s_cbranch_vccnz .LBB0_8
; %bb.7:                                ;   in Loop: Header=BB0_4 Depth=1
	v_cvt_f32_u32_e32 v1, s42
	s_sub_i32 s44, 0, s42
	v_rcp_iflag_f32_e32 v1, v1
	v_mul_f32_e32 v1, 0x4f7ffffe, v1
	v_cvt_u32_f32_e32 v1, v1
	v_readfirstlane_b32 s41, v1
	s_mul_i32 s44, s44, s41
	s_mul_hi_u32 s44, s41, s44
	s_add_i32 s41, s41, s44
	s_mul_hi_u32 s41, s20, s41
	s_mul_i32 s44, s41, s42
	s_add_i32 s45, s41, 1
	s_sub_i32 s44, s20, s44
	s_sub_i32 s47, s44, s42
	s_cmp_ge_u32 s44, s42
	s_cselect_b32 s41, s45, s41
	s_cselect_b32 s44, s47, s44
	s_add_i32 s45, s41, 1
	s_cmp_ge_u32 s44, s42
	s_cselect_b32 s44, s45, s41
	s_mov_b32 s45, s40
.LBB0_8:                                ;   in Loop: Header=BB0_4 Depth=1
	s_load_dwordx2 s[48:49], s[36:37], 0x0
	s_load_dwordx2 s[50:51], s[34:35], 0x0
	s_mul_i32 s29, s42, s29
	s_mul_hi_u32 s41, s42, s28
	s_mul_i32 s47, s43, s28
	s_mul_i32 s43, s44, s43
	s_mul_hi_u32 s52, s44, s42
	s_mul_i32 s53, s45, s42
	s_add_i32 s29, s41, s29
	s_add_i32 s41, s52, s43
	s_mul_i32 s54, s44, s42
	s_add_i32 s29, s29, s47
	s_add_i32 s41, s41, s53
	s_sub_u32 s20, s20, s54
	s_subb_u32 s21, s21, s41
	s_mul_i32 s28, s42, s28
	s_waitcnt lgkmcnt(0)
	s_mul_i32 s41, s48, s21
	s_mul_hi_u32 s43, s48, s20
	s_mul_i32 s47, s49, s20
	s_add_i32 s41, s43, s41
	s_mul_i32 s48, s48, s20
	s_mul_i32 s21, s50, s21
	s_mul_hi_u32 s43, s50, s20
	s_add_i32 s41, s41, s47
	s_add_u32 s26, s48, s26
	s_addc_u32 s27, s41, s27
	s_add_i32 s21, s43, s21
	s_mul_i32 s41, s51, s20
	s_mul_i32 s20, s50, s20
	s_add_i32 s21, s21, s41
	s_add_u32 s4, s20, s4
	s_addc_u32 s5, s21, s5
	s_add_u32 s38, s38, 1
	s_addc_u32 s39, s39, 0
	s_add_u32 s34, s34, 8
	v_cmp_ge_u64_e64 s20, s[38:39], s[30:31]
	s_addc_u32 s35, s35, 0
	s_add_u32 s36, s36, 8
	s_addc_u32 s37, s37, 0
	s_add_u32 s16, s16, 8
	s_addc_u32 s17, s17, 0
	s_and_b32 vcc_lo, exec_lo, s20
	s_cbranch_vccnz .LBB0_10
; %bb.9:                                ;   in Loop: Header=BB0_4 Depth=1
	s_mov_b64 s[20:21], s[44:45]
	s_branch .LBB0_4
.LBB0_10:
	v_cmp_lt_u64_e64 s7, s[6:7], s[28:29]
	s_mov_b64 s[20:21], 0
	s_and_b32 vcc_lo, exec_lo, s7
	s_cbranch_vccnz .LBB0_12
; %bb.11:
	v_cvt_f32_u32_e32 v1, s28
	s_sub_i32 s16, 0, s28
	v_rcp_iflag_f32_e32 v1, v1
	v_mul_f32_e32 v1, 0x4f7ffffe, v1
	v_cvt_u32_f32_e32 v1, v1
	v_readfirstlane_b32 s7, v1
	s_mul_i32 s16, s16, s7
	s_mul_hi_u32 s16, s7, s16
	s_add_i32 s7, s7, s16
	s_mul_hi_u32 s7, s6, s7
	s_mul_i32 s16, s7, s28
	s_sub_i32 s6, s6, s16
	s_add_i32 s16, s7, 1
	s_sub_i32 s17, s6, s28
	s_cmp_ge_u32 s6, s28
	s_cselect_b32 s7, s16, s7
	s_cselect_b32 s6, s17, s6
	s_add_i32 s16, s7, 1
	s_cmp_ge_u32 s6, s28
	s_cselect_b32 s20, s16, s7
.LBB0_12:
	v_mul_u32_u24_e32 v1, 0x2493, v0
	s_lshl_b64 s[6:7], s[30:31], 3
                                        ; implicit-def: $vgpr7_vgpr8
                                        ; implicit-def: $vgpr11_vgpr12
                                        ; implicit-def: $vgpr15_vgpr16
                                        ; implicit-def: $vgpr19_vgpr20
                                        ; implicit-def: $vgpr23_vgpr24
                                        ; implicit-def: $vgpr27_vgpr28
                                        ; implicit-def: $vgpr35_vgpr36
                                        ; implicit-def: $vgpr39_vgpr40
                                        ; implicit-def: $vgpr43_vgpr44
                                        ; implicit-def: $vgpr63_vgpr64
                                        ; implicit-def: $vgpr67_vgpr68
                                        ; implicit-def: $vgpr55_vgpr56
                                        ; implicit-def: $vgpr59_vgpr60
                                        ; implicit-def: $vgpr51_vgpr52
                                        ; implicit-def: $vgpr47_vgpr48
                                        ; implicit-def: $vgpr31_vgpr32
                                        ; implicit-def: $vgpr3_vgpr4
	s_add_u32 s62, s24, s6
	s_addc_u32 s63, s25, s7
	v_lshrrev_b32_e32 v131, 16, v1
	v_mul_lo_u16 v1, v131, 7
	v_sub_nc_u16 v1, v0, v1
	v_and_b32_e32 v1, 0xffff, v1
	buffer_store_dword v1, off, s[64:67], 0 ; 4-byte Folded Spill
	v_add_co_u32 v1, s16, s46, v1
	v_add_co_ci_u32_e64 v2, null, s33, 0, s16
	s_add_u32 s16, s46, 7
	s_addc_u32 s17, s33, 0
	v_cmp_le_u64_e64 s16, s[16:17], s[22:23]
	v_cmp_gt_u64_e32 vcc_lo, s[22:23], v[1:2]
                                        ; kill: def $vgpr1_vgpr2 killed $sgpr0_sgpr1 killed $exec
	s_or_b32 s21, s16, vcc_lo
	s_and_saveexec_b32 s16, s21
	s_cbranch_execz .LBB0_14
; %bb.13:
	buffer_load_dword v7, off, s[64:67], 0  ; 4-byte Folded Reload
	s_add_u32 s6, s18, s6
	s_addc_u32 s7, s19, s7
	v_add_nc_u32_e32 v10, 17, v131
	s_load_dwordx2 s[6:7], s[6:7], 0x0
	v_mad_u64_u32 v[3:4], null, s12, v131, 0
	v_add_nc_u32_e32 v12, 34, v131
	v_mad_u64_u32 v[5:6], null, s12, v10, 0
	v_add_nc_u32_e32 v14, 51, v131
	v_add_nc_u32_e32 v16, 0x44, v131
	;; [unrolled: 1-line block ×11, first 2 shown]
	v_mad_u64_u32 v[26:27], null, s12, v35, 0
	s_waitcnt lgkmcnt(0)
	s_mul_i32 s7, s7, s20
	v_mad_u64_u32 v[33:34], null, s12, v37, 0
	s_waitcnt vmcnt(0)
	v_mad_u64_u32 v[1:2], null, s14, v7, 0
	s_mul_hi_u32 s14, s6, s20
	s_mul_i32 s6, s6, s20
	s_add_i32 s7, s14, s7
	s_lshl_b64 s[6:7], s[6:7], 4
	s_add_u32 s8, s8, s6
	v_mad_u64_u32 v[7:8], null, s15, v7, v[2:3]
	v_mad_u64_u32 v[8:9], null, s13, v131, v[4:5]
	s_addc_u32 s9, s9, s7
	s_lshl_b64 s[6:7], s[26:27], 4
	s_add_u32 s6, s8, s6
	v_mov_b32_e32 v2, v7
	v_mad_u64_u32 v[9:10], null, s13, v10, v[6:7]
	v_mov_b32_e32 v4, v8
	v_mad_u64_u32 v[7:8], null, s12, v12, 0
	v_lshlrev_b64 v[1:2], 4, v[1:2]
	v_mad_u64_u32 v[10:11], null, s12, v14, 0
	v_lshlrev_b64 v[3:4], 4, v[3:4]
	s_addc_u32 s7, s9, s7
	v_mov_b32_e32 v6, v9
	v_add_co_u32 v71, vcc_lo, s6, v1
	v_add_co_ci_u32_e32 v72, vcc_lo, s7, v2, vcc_lo
	v_lshlrev_b64 v[5:6], 4, v[5:6]
	v_add_co_u32 v1, vcc_lo, v71, v3
	v_add_co_ci_u32_e32 v2, vcc_lo, v72, v4, vcc_lo
	v_mov_b32_e32 v3, v8
	v_mov_b32_e32 v4, v11
	v_mad_u64_u32 v[8:9], null, s13, v12, v[3:4]
	v_mad_u64_u32 v[12:13], null, s12, v16, 0
	;; [unrolled: 1-line block ×4, first 2 shown]
	v_add_co_u32 v5, vcc_lo, v71, v5
	v_mov_b32_e32 v4, v13
	v_add_co_ci_u32_e32 v6, vcc_lo, v72, v6, vcc_lo
	v_mov_b32_e32 v11, v3
	v_mov_b32_e32 v9, v15
	v_mad_u64_u32 v[16:17], null, s13, v16, v[4:5]
	s_clause 0x1
	global_load_dwordx4 v[1:4], v[1:2], off
	global_load_dwordx4 v[29:32], v[5:6], off
	v_lshlrev_b64 v[5:6], 4, v[10:11]
	v_mad_u64_u32 v[9:10], null, s13, v18, v[9:10]
	v_mad_u64_u32 v[10:11], null, s12, v19, 0
	v_lshlrev_b64 v[7:8], 4, v[7:8]
	v_mov_b32_e32 v13, v16
	v_mad_u64_u32 v[16:17], null, s12, v21, 0
	v_mov_b32_e32 v15, v9
	v_add_co_u32 v7, vcc_lo, v71, v7
	v_lshlrev_b64 v[12:13], 4, v[12:13]
	v_mov_b32_e32 v9, v11
	v_add_co_ci_u32_e32 v8, vcc_lo, v72, v8, vcc_lo
	v_add_co_u32 v5, vcc_lo, v71, v5
	v_lshlrev_b64 v[14:15], 4, v[14:15]
	v_add_co_ci_u32_e32 v6, vcc_lo, v72, v6, vcc_lo
	v_add_co_u32 v12, vcc_lo, v71, v12
	v_mad_u64_u32 v[18:19], null, s13, v19, v[9:10]
	v_add_co_ci_u32_e32 v13, vcc_lo, v72, v13, vcc_lo
	v_add_co_u32 v14, vcc_lo, v71, v14
	v_mov_b32_e32 v9, v17
	v_add_co_ci_u32_e32 v15, vcc_lo, v72, v15, vcc_lo
	v_mad_u64_u32 v[19:20], null, s12, v23, 0
	v_mov_b32_e32 v11, v18
	v_mad_u64_u32 v[21:22], null, s13, v21, v[9:10]
	s_clause 0x3
	global_load_dwordx4 v[45:48], v[7:8], off
	global_load_dwordx4 v[49:52], v[5:6], off
	;; [unrolled: 1-line block ×4, first 2 shown]
	v_add_nc_u32_e32 v15, 0x99, v131
	v_lshlrev_b64 v[6:7], 4, v[10:11]
	v_mov_b32_e32 v5, v20
	v_mov_b32_e32 v17, v21
	v_mad_u64_u32 v[8:9], null, s12, v15, 0
	v_add_nc_u32_e32 v21, 0xaa, v131
	v_mad_u64_u32 v[10:11], null, s13, v23, v[5:6]
	v_add_co_u32 v5, vcc_lo, v71, v6
	v_add_co_ci_u32_e32 v6, vcc_lo, v72, v7, vcc_lo
	v_lshlrev_b64 v[11:12], 4, v[16:17]
	v_mov_b32_e32 v7, v9
	v_mad_u64_u32 v[13:14], null, s12, v21, 0
	v_mov_b32_e32 v20, v10
	v_mad_u64_u32 v[9:10], null, s13, v15, v[7:8]
	v_add_co_u32 v10, vcc_lo, v71, v11
	v_add_co_ci_u32_e32 v11, vcc_lo, v72, v12, vcc_lo
	v_add_nc_u32_e32 v12, 0xbb, v131
	v_mov_b32_e32 v7, v14
	v_lshlrev_b64 v[15:16], 4, v[19:20]
	s_clause 0x1
	global_load_dwordx4 v[65:68], v[5:6], off
	global_load_dwordx4 v[61:64], v[10:11], off
	v_mad_u64_u32 v[17:18], null, s12, v12, 0
	v_mad_u64_u32 v[19:20], null, s13, v21, v[7:8]
	v_lshlrev_b64 v[7:8], 4, v[8:9]
	v_add_co_u32 v15, vcc_lo, v71, v15
	v_add_co_ci_u32_e32 v16, vcc_lo, v72, v16, vcc_lo
	v_mov_b32_e32 v9, v18
	v_mov_b32_e32 v14, v19
	v_mad_u64_u32 v[19:20], null, s12, v24, 0
	v_add_co_u32 v7, vcc_lo, v71, v7
	v_mad_u64_u32 v[21:22], null, s13, v12, v[9:10]
	v_mad_u64_u32 v[22:23], null, s12, v25, 0
	v_mov_b32_e32 v9, v20
	v_lshlrev_b64 v[12:13], 4, v[13:14]
	v_add_co_ci_u32_e32 v8, vcc_lo, v72, v8, vcc_lo
	v_mov_b32_e32 v18, v21
	v_mad_u64_u32 v[20:21], null, s13, v24, v[9:10]
	v_mov_b32_e32 v9, v23
	v_add_co_u32 v12, vcc_lo, v71, v12
	v_lshlrev_b64 v[17:18], 4, v[17:18]
	v_add_co_ci_u32_e32 v13, vcc_lo, v72, v13, vcc_lo
	v_mad_u64_u32 v[23:24], null, s13, v25, v[9:10]
	v_mad_u64_u32 v[24:25], null, s12, v28, 0
	v_lshlrev_b64 v[19:20], 4, v[19:20]
	v_add_co_u32 v17, vcc_lo, v71, v17
	v_mov_b32_e32 v14, v27
	v_lshlrev_b64 v[21:22], 4, v[22:23]
	v_add_co_ci_u32_e32 v18, vcc_lo, v72, v18, vcc_lo
	v_mov_b32_e32 v9, v25
	v_add_co_u32 v19, vcc_lo, v71, v19
	v_add_co_ci_u32_e32 v20, vcc_lo, v72, v20, vcc_lo
	v_mad_u64_u32 v[27:28], null, s13, v28, v[9:10]
	v_mov_b32_e32 v9, v34
	v_mad_u64_u32 v[35:36], null, s13, v35, v[14:15]
	v_add_co_u32 v69, vcc_lo, v71, v21
	v_add_co_ci_u32_e32 v70, vcc_lo, v72, v22, vcc_lo
	v_mad_u64_u32 v[21:22], null, s13, v37, v[9:10]
	v_mov_b32_e32 v25, v27
	v_mov_b32_e32 v27, v35
	s_clause 0x1
	global_load_dwordx4 v[41:44], v[15:16], off
	global_load_dwordx4 v[37:40], v[7:8], off
	v_lshlrev_b64 v[5:6], 4, v[24:25]
	v_mov_b32_e32 v34, v21
	v_lshlrev_b64 v[7:8], 4, v[26:27]
	v_add_co_u32 v5, vcc_lo, v71, v5
	v_lshlrev_b64 v[9:10], 4, v[33:34]
	v_add_co_ci_u32_e32 v6, vcc_lo, v72, v6, vcc_lo
	v_add_co_u32 v7, vcc_lo, v71, v7
	v_add_co_ci_u32_e32 v8, vcc_lo, v72, v8, vcc_lo
	v_add_co_u32 v71, vcc_lo, v71, v9
	v_add_co_ci_u32_e32 v72, vcc_lo, v72, v10, vcc_lo
	s_clause 0x6
	global_load_dwordx4 v[33:36], v[12:13], off
	global_load_dwordx4 v[25:28], v[17:18], off
	;; [unrolled: 1-line block ×7, first 2 shown]
.LBB0_14:
	s_or_b32 exec_lo, exec_lo, s16
	s_waitcnt vmcnt(15)
	v_add_f64 v[69:70], v[29:30], v[1:2]
	v_add_f64 v[71:72], v[31:32], v[3:4]
	s_waitcnt vmcnt(7)
	v_add_f64 v[77:78], v[41:42], -v[37:38]
	v_add_f64 v[79:80], v[43:44], -v[39:40]
	s_waitcnt vmcnt(0)
	v_add_f64 v[119:120], v[5:6], v[29:30]
	v_add_f64 v[121:122], v[7:8], v[31:32]
	v_add_f64 v[29:30], v[29:30], -v[5:6]
	v_add_f64 v[31:32], v[31:32], -v[7:8]
	s_mov_b32 s50, 0x5d8e7cdc
	s_mov_b32 s48, 0x2a9d6da3
	;; [unrolled: 1-line block ×16, first 2 shown]
	v_add_f64 v[69:70], v[45:46], v[69:70]
	v_add_f64 v[71:72], v[47:48], v[71:72]
	;; [unrolled: 1-line block ×4, first 2 shown]
	v_mul_f64 v[144:145], v[29:30], s[50:51]
	v_mul_f64 v[123:124], v[31:32], s[50:51]
	;; [unrolled: 1-line block ×18, first 2 shown]
	buffer_store_dword v29, off, s[64:67], 0 offset:4 ; 4-byte Folded Spill
	buffer_store_dword v30, off, s[64:67], 0 offset:8 ; 4-byte Folded Spill
	;; [unrolled: 1-line block ×4, first 2 shown]
	v_add_f64 v[73:74], v[49:50], v[69:70]
	v_add_f64 v[75:76], v[51:52], v[71:72]
	v_add_f64 v[93:94], v[65:66], -v[25:26]
	v_add_f64 v[95:96], v[67:68], -v[27:28]
	;; [unrolled: 1-line block ×4, first 2 shown]
	v_add_f64 v[71:72], v[39:40], v[43:44]
	v_add_f64 v[89:90], v[21:22], v[53:54]
	;; [unrolled: 1-line block ×3, first 2 shown]
	v_add_f64 v[101:102], v[53:54], -v[21:22]
	v_add_f64 v[103:104], v[55:56], -v[23:24]
	v_add_f64 v[97:98], v[17:18], v[57:58]
	v_add_f64 v[99:100], v[19:20], v[59:60]
	v_add_f64 v[105:106], v[57:58], -v[17:18]
	v_add_f64 v[107:108], v[59:60], -v[19:20]
	s_mov_b32 s6, 0x370991
	s_mov_b32 s7, 0x3fedd6d0
	;; [unrolled: 1-line block ×3, first 2 shown]
	v_fma_f64 v[202:203], v[119:120], s[6:7], v[123:124]
	v_fma_f64 v[206:207], v[121:122], s[6:7], -v[144:145]
	s_mov_b32 s12, 0x2b2883cd
	s_mov_b32 s28, 0x3259b75e
	v_add_f64 v[109:110], v[57:58], v[73:74]
	v_add_f64 v[111:112], v[59:60], v[75:76]
	;; [unrolled: 1-line block ×6, first 2 shown]
	s_mov_b32 s24, 0xc61f0d01
	s_mov_b32 s22, 0x6ed5f1bb
	;; [unrolled: 1-line block ×11, first 2 shown]
	v_fma_f64 v[123:124], v[119:120], s[6:7], -v[123:124]
	v_fma_f64 v[218:219], v[119:120], s[36:37], v[125:126]
	v_fma_f64 v[125:126], v[119:120], s[36:37], -v[125:126]
	v_fma_f64 v[220:221], v[119:120], s[12:13], v[127:128]
	v_fma_f64 v[127:128], v[119:120], s[12:13], -v[127:128]
	v_add_f64 v[109:110], v[53:54], v[109:110]
	v_add_f64 v[111:112], v[55:56], v[111:112]
	v_add_f64 v[53:54], v[49:50], -v[13:14]
	v_add_f64 v[55:56], v[51:52], -v[15:16]
	v_add_f64 v[49:50], v[9:10], v[45:46]
	v_add_f64 v[51:52], v[11:12], v[47:48]
	v_add_f64 v[45:46], v[45:46], -v[9:10]
	v_add_f64 v[47:48], v[47:48], -v[11:12]
	v_fma_f64 v[222:223], v[119:120], s[28:29], v[129:130]
	v_add_f64 v[202:203], v[1:2], v[202:203]
	v_add_f64 v[206:207], v[3:4], v[206:207]
	v_fma_f64 v[228:229], v[119:120], s[14:15], v[136:137]
	v_fma_f64 v[136:137], v[119:120], s[14:15], -v[136:137]
	v_fma_f64 v[230:231], v[119:120], s[8:9], v[142:143]
	v_fma_f64 v[142:143], v[119:120], s[8:9], -v[142:143]
	v_fma_f64 v[232:233], v[121:122], s[12:13], -v[148:149]
	s_mov_b32 s55, 0x3fc7851a
	s_mov_b32 s54, s16
	v_add_f64 v[218:219], v[1:2], v[218:219]
	v_mul_f64 v[168:169], v[107:108], s[16:17]
	v_mul_f64 v[170:171], v[105:106], s[16:17]
	v_fma_f64 v[148:149], v[121:122], s[12:13], v[148:149]
	v_add_f64 v[65:66], v[65:66], v[109:110]
	v_add_f64 v[67:68], v[67:68], v[111:112]
	v_mul_f64 v[113:114], v[53:54], s[38:39]
	v_mul_f64 v[111:112], v[55:56], s[38:39]
	;; [unrolled: 1-line block ×12, first 2 shown]
	v_fma_f64 v[234:235], v[121:122], s[28:29], -v[150:151]
	v_fma_f64 v[150:151], v[121:122], s[28:29], v[150:151]
	v_fma_f64 v[236:237], v[121:122], s[22:23], -v[156:157]
	v_fma_f64 v[156:157], v[121:122], s[22:23], v[156:157]
	;; [unrolled: 2-line block ×3, first 2 shown]
	v_add_f64 v[125:126], v[1:2], v[125:126]
	v_add_f64 v[220:221], v[1:2], v[220:221]
	;; [unrolled: 1-line block ×4, first 2 shown]
	v_mul_f64 v[67:68], v[107:108], s[34:35]
	v_mul_f64 v[65:66], v[101:102], s[30:31]
	v_fma_f64 v[240:241], v[99:100], s[28:29], -v[109:110]
	v_add_f64 v[232:233], v[3:4], v[232:233]
	v_fma_f64 v[226:227], v[51:52], s[36:37], -v[117:118]
	v_fma_f64 v[224:225], v[49:50], s[36:37], v[115:116]
	v_fma_f64 v[246:247], v[51:52], s[28:29], -v[162:163]
	v_add_f64 v[127:128], v[1:2], v[127:128]
	v_fma_f64 v[250:251], v[49:50], s[22:23], v[186:187]
	v_fma_f64 v[252:253], v[51:52], s[22:23], -v[188:189]
	v_fma_f64 v[186:187], v[49:50], s[22:23], -v[186:187]
	s_mov_b32 s47, 0x3fe0d888
	s_mov_b32 s45, 0x3feec746
	;; [unrolled: 1-line block ×4, first 2 shown]
	v_mul_f64 v[172:173], v[103:104], s[46:47]
	v_mul_f64 v[174:175], v[101:102], s[46:47]
	s_mov_b32 s53, 0x3fe58eea
	s_mov_b32 s52, s48
	v_add_f64 v[69:70], v[37:38], v[41:42]
	v_add_f64 v[138:139], v[41:42], v[61:62]
	v_add_f64 v[140:141], v[43:44], v[63:64]
	v_mul_f64 v[63:64], v[103:104], s[30:31]
	v_mul_f64 v[43:44], v[95:96], s[26:27]
	;; [unrolled: 1-line block ×3, first 2 shown]
	v_fma_f64 v[248:249], v[91:92], s[24:25], -v[65:66]
	v_add_f64 v[206:207], v[226:227], v[206:207]
	v_add_f64 v[202:203], v[224:225], v[202:203]
	v_fma_f64 v[224:225], v[59:60], s[12:13], -v[113:114]
	v_fma_f64 v[226:227], v[121:122], s[8:9], -v[160:161]
	v_fma_f64 v[160:161], v[121:122], s[8:9], v[160:161]
	v_add_f64 v[220:221], v[250:251], v[220:221]
	v_fma_f64 v[250:251], v[57:58], s[8:9], v[190:191]
	v_add_f64 v[232:233], v[252:253], v[232:233]
	v_fma_f64 v[252:253], v[59:60], s[8:9], -v[192:193]
	v_add_f64 v[186:187], v[186:187], v[127:128]
	v_mul_f64 v[41:42], v[87:88], s[18:19]
	v_mul_f64 v[176:177], v[95:96], s[44:45]
	;; [unrolled: 1-line block ×6, first 2 shown]
	v_add_f64 v[138:139], v[37:38], v[138:139]
	v_add_f64 v[39:40], v[39:40], v[140:141]
	v_mul_f64 v[140:141], v[47:48], s[34:35]
	v_fma_f64 v[242:243], v[89:90], s[24:25], v[63:64]
	v_mul_f64 v[37:38], v[85:86], s[18:19]
	v_mul_f64 v[208:209], v[45:46], s[16:17]
	v_fma_f64 v[188:189], v[51:52], s[22:23], v[188:189]
	s_mov_b32 s43, 0x3feca52d
	v_add_f64 v[206:207], v[224:225], v[206:207]
	s_mov_b32 s42, s38
	v_mul_f64 v[198:199], v[95:96], s[50:51]
	v_mul_f64 v[180:181], v[87:88], s[42:43]
	v_add_f64 v[220:221], v[250:251], v[220:221]
	v_mul_f64 v[200:201], v[93:94], s[50:51]
	v_add_f64 v[232:233], v[252:253], v[232:233]
	v_mul_f64 v[210:211], v[55:56], s[44:45]
	v_mul_f64 v[212:213], v[53:54], s[44:45]
	v_fma_f64 v[254:255], v[81:82], s[24:25], v[176:177]
	v_fma_f64 v[190:191], v[57:58], s[8:9], -v[190:191]
	v_fma_f64 v[192:193], v[59:60], s[8:9], v[192:193]
	s_mov_b32 s41, 0x3fd71e95
	s_mov_b32 s40, s50
	v_add_f64 v[33:34], v[33:34], v[138:139]
	v_add_f64 v[35:36], v[35:36], v[39:40]
	v_fma_f64 v[244:245], v[49:50], s[28:29], v[140:141]
	v_mul_f64 v[39:40], v[107:108], s[44:45]
	v_mul_f64 v[138:139], v[105:106], s[44:45]
	v_fma_f64 v[224:225], v[75:76], s[14:15], -v[37:38]
	v_mul_f64 v[182:183], v[85:86], s[42:43]
	v_mul_f64 v[184:185], v[79:80], s[40:41]
	v_add_f64 v[206:207], v[240:241], v[206:207]
	v_fma_f64 v[240:241], v[91:92], s[14:15], -v[174:175]
	v_mul_f64 v[214:215], v[107:108], s[40:41]
	v_mul_f64 v[216:217], v[105:106], s[40:41]
	v_fma_f64 v[174:175], v[91:92], s[14:15], v[174:175]
	v_fma_f64 v[176:177], v[81:82], s[24:25], -v[176:177]
	v_fma_f64 v[250:251], v[81:82], s[6:7], v[198:199]
	v_fma_f64 v[252:253], v[83:84], s[6:7], -v[200:201]
	v_add_f64 v[150:151], v[3:4], v[150:151]
	v_add_f64 v[236:237], v[3:4], v[236:237]
	;; [unrolled: 1-line block ×3, first 2 shown]
	s_mov_b32 s59, 0x3fe9895b
	s_mov_b32 s58, s26
	;; [unrolled: 1-line block ×3, first 2 shown]
	v_add_f64 v[25:26], v[25:26], v[33:34]
	v_add_f64 v[27:28], v[27:28], v[35:36]
	v_fma_f64 v[33:34], v[119:120], s[28:29], -v[129:130]
	v_fma_f64 v[35:36], v[119:120], s[24:25], v[132:133]
	v_fma_f64 v[129:130], v[119:120], s[24:25], -v[132:133]
	v_fma_f64 v[132:133], v[119:120], s[22:23], v[134:135]
	;; [unrolled: 2-line block ×4, first 2 shown]
	v_add_f64 v[218:219], v[244:245], v[218:219]
	v_fma_f64 v[244:245], v[57:58], s[22:23], v[164:165]
	v_fma_f64 v[164:165], v[57:58], s[22:23], -v[164:165]
	v_add_f64 v[206:207], v[248:249], v[206:207]
	v_fma_f64 v[152:153], v[97:98], s[24:25], -v[39:40]
	v_fma_f64 v[248:249], v[89:90], s[36:37], v[194:195]
	s_mov_b32 s60, s34
	v_fma_f64 v[37:38], v[75:76], s[14:15], v[37:38]
	v_add_f64 v[21:22], v[21:22], v[25:26]
	v_add_f64 v[23:24], v[23:24], v[27:28]
	v_fma_f64 v[25:26], v[57:58], s[12:13], v[111:112]
	v_fma_f64 v[27:28], v[121:122], s[24:25], -v[154:155]
	v_fma_f64 v[154:155], v[121:122], s[24:25], v[154:155]
	v_fma_f64 v[121:122], v[97:98], s[28:29], v[67:68]
	v_add_f64 v[132:133], v[1:2], v[132:133]
	v_add_f64 v[144:145], v[3:4], v[144:145]
	;; [unrolled: 1-line block ×4, first 2 shown]
	v_fma_f64 v[218:219], v[83:84], s[24:25], -v[178:179]
	v_fma_f64 v[244:245], v[73:74], s[12:13], v[180:181]
	v_fma_f64 v[178:179], v[83:84], s[24:25], v[178:179]
	v_add_f64 v[17:18], v[17:18], v[21:22]
	v_add_f64 v[19:20], v[19:20], v[23:24]
	v_fma_f64 v[23:24], v[49:50], s[28:29], -v[140:141]
	v_fma_f64 v[140:141], v[51:52], s[28:29], v[162:163]
	v_add_f64 v[25:26], v[25:26], v[202:203]
	v_fma_f64 v[21:22], v[81:82], s[22:23], v[43:44]
	v_fma_f64 v[162:163], v[83:84], s[22:23], -v[61:62]
	v_fma_f64 v[202:203], v[73:74], s[14:15], v[41:42]
	v_add_f64 v[144:145], v[246:247], v[144:145]
	v_fma_f64 v[246:247], v[59:60], s[22:23], -v[166:167]
	v_fma_f64 v[166:167], v[59:60], s[22:23], v[166:167]
	v_add_f64 v[154:155], v[3:4], v[154:155]
	v_fma_f64 v[43:44], v[81:82], s[22:23], -v[43:44]
	v_fma_f64 v[41:42], v[73:74], s[14:15], -v[41:42]
	v_add_f64 v[13:14], v[13:14], v[17:18]
	v_add_f64 v[15:16], v[15:16], v[19:20]
	;; [unrolled: 1-line block ×3, first 2 shown]
	v_fma_f64 v[125:126], v[97:98], s[8:9], v[168:169]
	v_add_f64 v[140:141], v[140:141], v[146:147]
	v_fma_f64 v[146:147], v[99:100], s[8:9], -v[170:171]
	v_add_f64 v[25:26], v[121:122], v[25:26]
	v_fma_f64 v[121:122], v[89:90], s[14:15], v[172:173]
	v_fma_f64 v[168:169], v[97:98], s[8:9], -v[168:169]
	v_add_f64 v[144:145], v[246:247], v[144:145]
	v_fma_f64 v[170:171], v[99:100], s[8:9], v[170:171]
	v_fma_f64 v[246:247], v[99:100], s[24:25], -v[138:139]
	v_fma_f64 v[172:173], v[89:90], s[14:15], -v[172:173]
	v_add_f64 v[162:163], v[162:163], v[206:207]
	v_fma_f64 v[138:139], v[99:100], s[24:25], v[138:139]
	v_fma_f64 v[206:207], v[59:60], s[24:25], -v[212:213]
	v_add_f64 v[9:10], v[9:10], v[13:14]
	v_add_f64 v[11:12], v[11:12], v[15:16]
	;; [unrolled: 1-line block ×5, first 2 shown]
	v_fma_f64 v[166:167], v[91:92], s[36:37], -v[196:197]
	v_add_f64 v[25:26], v[242:243], v[25:26]
	v_fma_f64 v[242:243], v[97:98], s[24:25], v[39:40]
	v_add_f64 v[39:40], v[125:126], v[127:128]
	v_add_f64 v[127:128], v[3:4], v[148:149]
	;; [unrolled: 1-line block ×3, first 2 shown]
	v_fma_f64 v[125:126], v[49:50], s[8:9], v[204:205]
	v_fma_f64 v[146:147], v[51:52], s[8:9], -v[208:209]
	v_add_f64 v[27:28], v[1:2], v[134:135]
	v_fma_f64 v[148:149], v[57:58], s[24:25], v[210:211]
	v_add_f64 v[162:163], v[224:225], v[162:163]
	v_add_f64 v[15:16], v[190:191], v[186:187]
	v_fma_f64 v[190:191], v[57:58], s[24:25], -v[210:211]
	v_add_f64 v[5:6], v[5:6], v[9:10]
	v_add_f64 v[7:8], v[7:8], v[11:12]
	;; [unrolled: 1-line block ×3, first 2 shown]
	v_mul_f64 v[11:12], v[87:88], s[34:35]
	v_add_f64 v[140:141], v[170:171], v[140:141]
	v_add_f64 v[170:171], v[246:247], v[232:233]
	;; [unrolled: 1-line block ×9, first 2 shown]
	v_fma_f64 v[188:189], v[51:52], s[8:9], v[208:209]
	v_mul_f64 v[208:209], v[93:94], s[60:61]
	v_add_f64 v[15:16], v[152:153], v[15:16]
	v_mul_f64 v[152:153], v[101:102], s[38:39]
	v_add_f64 v[144:145], v[172:173], v[164:165]
	;; [unrolled: 2-line block ×4, first 2 shown]
	v_fma_f64 v[186:187], v[73:74], s[28:29], -v[11:12]
	v_mul_f64 v[202:203], v[77:78], s[52:53]
	v_fma_f64 v[17:18], v[69:70], s[8:9], v[29:30]
	v_fma_f64 v[19:20], v[71:72], s[8:9], -v[31:32]
	v_add_f64 v[29:30], v[1:2], v[123:124]
	v_add_f64 v[31:32], v[3:4], v[119:120]
	;; [unrolled: 1-line block ×13, first 2 shown]
	v_mul_f64 v[13:14], v[85:86], s[34:35]
	v_add_f64 v[39:40], v[1:2], v[230:231]
	v_add_f64 v[144:145], v[176:177], v[144:145]
	v_fma_f64 v[166:167], v[73:74], s[12:13], -v[180:181]
	v_fma_f64 v[170:171], v[73:74], s[28:29], v[11:12]
	v_mul_f64 v[176:177], v[77:78], s[18:19]
	v_add_f64 v[140:141], v[178:179], v[140:141]
	v_add_f64 v[1:2], v[17:18], v[21:22]
	v_fma_f64 v[17:18], v[89:90], s[36:37], -v[194:195]
	v_mul_f64 v[178:179], v[95:96], s[18:19]
	v_fma_f64 v[180:181], v[49:50], s[8:9], -v[204:205]
	v_add_f64 v[125:126], v[125:126], v[119:120]
	v_add_f64 v[123:124], v[146:147], v[123:124]
	;; [unrolled: 1-line block ×7, first 2 shown]
	v_fma_f64 v[160:161], v[75:76], s[12:13], -v[182:183]
	v_fma_f64 v[162:163], v[69:70], s[6:7], v[184:185]
	v_add_f64 v[158:159], v[252:253], v[158:159]
	v_add_f64 v[134:135], v[138:139], v[134:135]
	v_fma_f64 v[138:139], v[91:92], s[36:37], v[196:197]
	v_fma_f64 v[172:173], v[75:76], s[28:29], -v[13:14]
	v_fma_f64 v[168:169], v[75:76], s[12:13], v[182:183]
	v_add_f64 v[144:145], v[166:167], v[144:145]
	v_mul_f64 v[166:167], v[47:48], s[46:47]
	v_fma_f64 v[182:183], v[71:72], s[14:15], -v[176:177]
	v_mul_f64 v[194:195], v[87:88], s[58:59]
	v_add_f64 v[150:151], v[188:189], v[150:151]
	v_add_f64 v[15:16], v[17:18], v[15:16]
	v_fma_f64 v[17:18], v[81:82], s[6:7], -v[198:199]
	v_add_f64 v[180:181], v[180:181], v[222:223]
	v_add_f64 v[19:20], v[148:149], v[125:126]
	;; [unrolled: 1-line block ×3, first 2 shown]
	v_fma_f64 v[123:124], v[97:98], s[6:7], v[214:215]
	v_fma_f64 v[125:126], v[99:100], s[6:7], -v[216:217]
	v_mul_f64 v[148:149], v[103:104], s[38:39]
	v_add_f64 v[142:143], v[244:245], v[142:143]
	v_add_f64 v[146:147], v[250:251], v[146:147]
	;; [unrolled: 1-line block ×3, first 2 shown]
	v_mul_f64 v[198:199], v[55:56], s[52:53]
	v_mul_f64 v[188:189], v[107:108], s[38:39]
	;; [unrolled: 1-line block ×3, first 2 shown]
	v_add_f64 v[134:135], v[138:139], v[134:135]
	v_fma_f64 v[138:139], v[83:84], s[6:7], v[200:201]
	v_add_f64 v[158:159], v[172:173], v[158:159]
	v_fma_f64 v[172:173], v[69:70], s[14:15], v[174:175]
	v_add_f64 v[140:141], v[168:169], v[140:141]
	v_fma_f64 v[168:169], v[69:70], s[6:7], -v[184:185]
	v_fma_f64 v[196:197], v[49:50], s[14:15], v[166:167]
	v_mul_f64 v[200:201], v[53:54], s[50:51]
	v_fma_f64 v[206:207], v[71:72], s[36:37], -v[202:203]
	v_add_f64 v[184:185], v[17:18], v[15:16]
	v_add_f64 v[19:20], v[123:124], v[19:20]
	;; [unrolled: 1-line block ×3, first 2 shown]
	v_fma_f64 v[123:124], v[89:90], s[12:13], v[148:149]
	v_fma_f64 v[125:126], v[91:92], s[12:13], -v[152:153]
	v_add_f64 v[9:10], v[162:163], v[142:143]
	v_fma_f64 v[142:143], v[71:72], s[6:7], -v[164:165]
	v_mul_f64 v[162:163], v[93:94], s[18:19]
	v_add_f64 v[146:147], v[170:171], v[146:147]
	v_fma_f64 v[164:165], v[71:72], s[6:7], v[164:165]
	v_mul_f64 v[170:171], v[45:46], s[46:47]
	v_add_f64 v[134:135], v[138:139], v[134:135]
	v_fma_f64 v[138:139], v[75:76], s[28:29], v[13:14]
	v_fma_f64 v[148:149], v[89:90], s[12:13], -v[148:149]
	v_fma_f64 v[152:153], v[91:92], s[12:13], v[152:153]
	v_add_f64 v[13:14], v[168:169], v[144:145]
	v_add_f64 v[168:169], v[190:191], v[180:181]
	v_fma_f64 v[180:181], v[97:98], s[6:7], -v[214:215]
	v_add_f64 v[123:124], v[123:124], v[19:20]
	v_add_f64 v[21:22], v[125:126], v[21:22]
	v_fma_f64 v[125:126], v[81:82], s[14:15], v[178:179]
	v_add_f64 v[11:12], v[142:143], v[160:161]
	v_fma_f64 v[192:193], v[83:84], s[14:15], -v[162:163]
	v_mul_f64 v[142:143], v[85:86], s[58:59]
	v_add_f64 v[17:18], v[172:173], v[146:147]
	v_add_f64 v[19:20], v[182:183], v[158:159]
	v_mul_f64 v[146:147], v[47:48], s[44:45]
	v_mul_f64 v[158:159], v[45:46], s[44:45]
	v_fma_f64 v[144:145], v[51:52], s[14:15], -v[170:171]
	v_mul_f64 v[160:161], v[53:54], s[52:53]
	v_add_f64 v[15:16], v[164:165], v[140:141]
	v_add_f64 v[140:141], v[186:187], v[184:185]
	v_fma_f64 v[172:173], v[59:60], s[24:25], v[212:213]
	v_fma_f64 v[182:183], v[73:74], s[22:23], v[194:195]
	v_add_f64 v[184:185], v[196:197], v[234:235]
	v_fma_f64 v[186:187], v[57:58], s[36:37], v[198:199]
	v_fma_f64 v[170:171], v[51:52], s[14:15], v[170:171]
	v_mul_f64 v[196:197], v[55:56], s[50:51]
	v_add_f64 v[168:169], v[180:181], v[168:169]
	v_add_f64 v[164:165], v[125:126], v[123:124]
	;; [unrolled: 1-line block ×4, first 2 shown]
	v_fma_f64 v[190:191], v[75:76], s[22:23], -v[142:143]
	v_fma_f64 v[134:135], v[49:50], s[14:15], -v[166:167]
	;; [unrolled: 1-line block ×3, first 2 shown]
	v_fma_f64 v[125:126], v[71:72], s[14:15], v[176:177]
	v_fma_f64 v[174:175], v[49:50], s[24:25], v[146:147]
	v_fma_f64 v[176:177], v[51:52], s[24:25], -v[158:159]
	v_mul_f64 v[192:193], v[79:80], s[52:53]
	v_add_f64 v[23:24], v[144:145], v[23:24]
	v_fma_f64 v[138:139], v[59:60], s[36:37], -v[160:161]
	v_mul_f64 v[144:145], v[105:106], s[38:39]
	v_add_f64 v[150:151], v[172:173], v[150:151]
	v_fma_f64 v[172:173], v[99:100], s[6:7], v[216:217]
	v_add_f64 v[180:181], v[186:187], v[184:185]
	v_add_f64 v[154:155], v[170:171], v[154:155]
	v_fma_f64 v[160:161], v[59:60], s[36:37], v[160:161]
	v_add_f64 v[148:149], v[148:149], v[168:169]
	v_fma_f64 v[168:169], v[81:82], s[14:15], -v[178:179]
	v_fma_f64 v[146:147], v[49:50], s[24:25], -v[146:147]
	v_fma_f64 v[158:159], v[51:52], s[24:25], v[158:159]
	v_add_f64 v[164:165], v[182:183], v[164:165]
	v_fma_f64 v[182:183], v[97:98], s[12:13], v[188:189]
	v_fma_f64 v[142:143], v[75:76], s[22:23], v[142:143]
	v_add_f64 v[184:185], v[190:191], v[21:22]
	v_mul_f64 v[190:191], v[103:104], s[16:17]
	v_add_f64 v[21:22], v[134:135], v[25:26]
	v_fma_f64 v[25:26], v[57:58], s[36:37], -v[198:199]
	v_add_f64 v[132:133], v[174:175], v[132:133]
	v_add_f64 v[170:171], v[176:177], v[236:237]
	v_fma_f64 v[174:175], v[57:58], s[6:7], v[196:197]
	v_fma_f64 v[176:177], v[59:60], s[6:7], -v[200:201]
	v_mul_f64 v[198:199], v[107:108], s[18:19]
	v_fma_f64 v[186:187], v[69:70], s[36:37], v[192:193]
	v_add_f64 v[23:24], v[138:139], v[23:24]
	v_fma_f64 v[134:135], v[99:100], s[12:13], -v[144:145]
	v_mul_f64 v[138:139], v[101:102], s[16:17]
	v_add_f64 v[150:151], v[172:173], v[150:151]
	v_add_f64 v[154:155], v[160:161], v[154:155]
	v_fma_f64 v[144:145], v[99:100], s[12:13], v[144:145]
	v_add_f64 v[148:149], v[168:169], v[148:149]
	v_add_f64 v[27:28], v[146:147], v[27:28]
	;; [unrolled: 1-line block ×3, first 2 shown]
	v_fma_f64 v[156:157], v[59:60], s[6:7], v[200:201]
	v_add_f64 v[172:173], v[182:183], v[180:181]
	v_mul_f64 v[180:181], v[95:96], s[60:61]
	v_fma_f64 v[182:183], v[97:98], s[12:13], -v[188:189]
	v_fma_f64 v[178:179], v[89:90], s[8:9], v[190:191]
	v_fma_f64 v[192:193], v[69:70], s[36:37], -v[192:193]
	v_add_f64 v[25:26], v[25:26], v[21:22]
	v_add_f64 v[21:22], v[166:167], v[140:141]
	;; [unrolled: 1-line block ×4, first 2 shown]
	v_fma_f64 v[166:167], v[97:98], s[14:15], v[198:199]
	v_fma_f64 v[170:171], v[99:100], s[14:15], -v[204:205]
	v_mul_f64 v[174:175], v[103:104], s[60:61]
	v_mul_f64 v[176:177], v[101:102], s[60:61]
	v_add_f64 v[23:24], v[134:135], v[23:24]
	v_fma_f64 v[188:189], v[91:92], s[8:9], -v[138:139]
	v_add_f64 v[132:133], v[186:187], v[164:165]
	v_add_f64 v[150:151], v[152:153], v[150:151]
	v_fma_f64 v[152:153], v[83:84], s[14:15], v[162:163]
	v_fma_f64 v[162:163], v[73:74], s[22:23], -v[194:195]
	v_add_f64 v[134:135], v[206:207], v[184:185]
	v_add_f64 v[144:145], v[144:145], v[154:155]
	v_fma_f64 v[138:139], v[91:92], s[8:9], v[138:139]
	v_fma_f64 v[168:169], v[81:82], s[28:29], v[180:181]
	v_mul_f64 v[184:185], v[95:96], s[48:49]
	v_add_f64 v[164:165], v[178:179], v[172:173]
	v_fma_f64 v[172:173], v[89:90], s[8:9], -v[190:191]
	v_add_f64 v[25:26], v[182:183], v[25:26]
	v_mul_f64 v[186:187], v[93:94], s[48:49]
	v_mul_f64 v[154:155], v[87:88], s[50:51]
	;; [unrolled: 1-line block ×3, first 2 shown]
	v_add_f64 v[146:147], v[156:157], v[146:147]
	v_add_f64 v[140:141], v[166:167], v[140:141]
	;; [unrolled: 1-line block ×3, first 2 shown]
	v_fma_f64 v[166:167], v[89:90], s[28:29], v[174:175]
	v_fma_f64 v[170:171], v[91:92], s[28:29], -v[176:177]
	v_fma_f64 v[156:157], v[99:100], s[14:15], v[204:205]
	v_add_f64 v[23:24], v[188:189], v[23:24]
	v_mul_f64 v[188:189], v[87:88], s[16:17]
	v_mul_f64 v[182:183], v[85:86], s[50:51]
	v_add_f64 v[150:151], v[152:153], v[150:151]
	v_fma_f64 v[152:153], v[57:58], s[6:7], -v[196:197]
	v_add_f64 v[148:149], v[162:163], v[148:149]
	v_fma_f64 v[162:163], v[81:82], s[28:29], -v[180:181]
	v_add_f64 v[138:139], v[138:139], v[144:145]
	v_fma_f64 v[144:145], v[83:84], s[28:29], v[208:209]
	v_mul_f64 v[196:197], v[55:56], s[34:35]
	v_add_f64 v[158:159], v[168:169], v[164:165]
	v_mul_f64 v[164:165], v[47:48], s[42:43]
	v_add_f64 v[25:26], v[172:173], v[25:26]
	v_mul_f64 v[168:169], v[45:46], s[42:43]
	v_mul_f64 v[47:48], v[47:48], s[40:41]
	;; [unrolled: 1-line block ×4, first 2 shown]
	v_fma_f64 v[178:179], v[83:84], s[28:29], -v[208:209]
	v_fma_f64 v[172:173], v[73:74], s[6:7], v[154:155]
	v_add_f64 v[140:141], v[166:167], v[140:141]
	v_add_f64 v[160:161], v[170:171], v[160:161]
	v_fma_f64 v[166:167], v[81:82], s[36:37], v[184:185]
	v_fma_f64 v[170:171], v[83:84], s[36:37], -v[186:187]
	v_add_f64 v[146:147], v[156:157], v[146:147]
	v_fma_f64 v[156:157], v[91:92], s[28:29], v[176:177]
	v_mul_f64 v[176:177], v[107:108], s[58:59]
	v_add_f64 v[27:28], v[152:153], v[27:28]
	v_fma_f64 v[152:153], v[97:98], s[14:15], -v[198:199]
	v_mul_f64 v[198:199], v[53:54], s[34:35]
	v_mul_f64 v[53:54], v[53:54], s[18:19]
	v_add_f64 v[138:139], v[144:145], v[138:139]
	v_fma_f64 v[144:145], v[73:74], s[6:7], -v[154:155]
	v_mul_f64 v[107:108], v[107:108], s[52:53]
	v_fma_f64 v[154:155], v[75:76], s[6:7], v[182:183]
	v_add_f64 v[25:26], v[162:163], v[25:26]
	v_fma_f64 v[162:163], v[49:50], s[12:13], v[164:165]
	v_fma_f64 v[194:195], v[51:52], s[12:13], -v[168:169]
	v_fma_f64 v[164:165], v[49:50], s[12:13], -v[164:165]
	v_fma_f64 v[168:169], v[51:52], s[12:13], v[168:169]
	v_add_f64 v[23:24], v[178:179], v[23:24]
	v_fma_f64 v[178:179], v[75:76], s[6:7], -v[182:183]
	v_add_f64 v[142:143], v[142:143], v[150:151]
	v_mul_f64 v[150:151], v[77:78], s[26:27]
	v_add_f64 v[140:141], v[166:167], v[140:141]
	v_add_f64 v[160:161], v[170:171], v[160:161]
	v_fma_f64 v[166:167], v[73:74], s[8:9], v[188:189]
	v_fma_f64 v[170:171], v[75:76], s[8:9], -v[190:191]
	v_add_f64 v[146:147], v[156:157], v[146:147]
	v_mul_f64 v[156:157], v[101:102], s[50:51]
	v_add_f64 v[27:28], v[152:153], v[27:28]
	v_fma_f64 v[152:153], v[89:90], s[28:29], -v[174:175]
	v_fma_f64 v[174:175], v[59:60], s[28:29], -v[198:199]
	v_mul_f64 v[101:102], v[101:102], s[26:27]
	v_mul_f64 v[180:181], v[79:80], s[26:27]
	;; [unrolled: 1-line block ×3, first 2 shown]
	v_add_f64 v[158:159], v[172:173], v[158:159]
	v_add_f64 v[144:145], v[144:145], v[25:26]
	;; [unrolled: 1-line block ×4, first 2 shown]
	v_fma_f64 v[162:163], v[57:58], s[28:29], v[196:197]
	v_mul_f64 v[25:26], v[105:106], s[58:59]
	v_add_f64 v[35:36], v[164:165], v[35:36]
	v_add_f64 v[121:122], v[168:169], v[121:122]
	v_fma_f64 v[168:169], v[59:60], s[14:15], -v[53:54]
	v_mul_f64 v[105:106], v[105:106], s[52:53]
	v_fma_f64 v[164:165], v[59:60], s[28:29], v[198:199]
	v_fma_f64 v[53:54], v[59:60], s[14:15], v[53:54]
	v_add_f64 v[140:141], v[166:167], v[140:141]
	v_add_f64 v[160:161], v[170:171], v[160:161]
	v_fma_f64 v[166:167], v[49:50], s[6:7], v[47:48]
	v_fma_f64 v[170:171], v[51:52], s[6:7], -v[45:46]
	v_fma_f64 v[47:48], v[49:50], s[6:7], -v[47:48]
	;; [unrolled: 1-line block ×3, first 2 shown]
	v_fma_f64 v[45:46], v[51:52], s[6:7], v[45:46]
	v_fma_f64 v[51:52], v[51:52], s[36:37], v[117:118]
	v_mul_f64 v[117:118], v[103:104], s[50:51]
	v_add_f64 v[27:28], v[152:153], v[27:28]
	v_fma_f64 v[152:153], v[97:98], s[22:23], v[176:177]
	v_mul_f64 v[103:104], v[103:104], s[26:27]
	v_add_f64 v[23:24], v[178:179], v[23:24]
	v_add_f64 v[129:130], v[174:175], v[129:130]
	;; [unrolled: 1-line block ×3, first 2 shown]
	v_fma_f64 v[115:116], v[99:100], s[22:23], -v[25:26]
	v_fma_f64 v[162:163], v[57:58], s[28:29], -v[196:197]
	v_fma_f64 v[25:26], v[99:100], s[22:23], v[25:26]
	v_fma_f64 v[178:179], v[71:72], s[22:23], -v[150:151]
	v_fma_f64 v[172:173], v[69:70], s[22:23], v[180:181]
	v_add_f64 v[138:139], v[154:155], v[138:139]
	v_fma_f64 v[154:155], v[69:70], s[22:23], -v[180:181]
	v_fma_f64 v[180:181], v[69:70], s[12:13], v[182:183]
	v_mul_f64 v[194:195], v[77:78], s[42:43]
	v_add_f64 v[39:40], v[166:167], v[39:40]
	v_add_f64 v[119:120], v[170:171], v[119:120]
	v_fma_f64 v[166:167], v[57:58], s[14:15], v[55:56]
	v_add_f64 v[29:30], v[49:50], v[29:30]
	v_fma_f64 v[49:50], v[57:58], s[12:13], -v[111:112]
	v_add_f64 v[47:48], v[47:48], v[136:137]
	v_add_f64 v[33:34], v[45:46], v[33:34]
	v_fma_f64 v[45:46], v[57:58], s[14:15], -v[55:56]
	v_add_f64 v[31:32], v[51:52], v[31:32]
	v_fma_f64 v[51:52], v[59:60], s[12:13], v[113:114]
	v_fma_f64 v[111:112], v[91:92], s[6:7], -v[156:157]
	v_fma_f64 v[55:56], v[81:82], s[36:37], -v[184:185]
	v_add_f64 v[113:114], v[164:165], v[121:122]
	v_add_f64 v[57:58], v[115:116], v[129:130]
	;; [unrolled: 1-line block ×3, first 2 shown]
	v_fma_f64 v[115:116], v[97:98], s[22:23], -v[176:177]
	v_fma_f64 v[129:130], v[99:100], s[36:37], -v[105:106]
	v_fma_f64 v[121:122], v[97:98], s[36:37], v[107:108]
	v_fma_f64 v[59:60], v[89:90], s[6:7], v[117:118]
	;; [unrolled: 1-line block ×3, first 2 shown]
	v_add_f64 v[127:128], v[152:153], v[127:128]
	v_fma_f64 v[150:151], v[71:72], s[22:23], v[150:151]
	v_add_f64 v[119:120], v[168:169], v[119:120]
	v_add_f64 v[39:40], v[166:167], v[39:40]
	;; [unrolled: 1-line block ×3, first 2 shown]
	v_fma_f64 v[49:50], v[97:98], s[28:29], -v[67:68]
	v_add_f64 v[33:34], v[53:54], v[33:34]
	v_add_f64 v[45:46], v[45:46], v[47:48]
	v_fma_f64 v[47:48], v[97:98], s[36:37], -v[107:108]
	v_fma_f64 v[53:54], v[99:100], s[36:37], v[105:106]
	v_mul_f64 v[105:106], v[93:94], s[16:17]
	v_add_f64 v[31:32], v[51:52], v[31:32]
	v_fma_f64 v[51:52], v[99:100], s[28:29], v[109:110]
	v_add_f64 v[57:58], v[111:112], v[57:58]
	v_fma_f64 v[97:98], v[89:90], s[6:7], -v[117:118]
	v_add_f64 v[35:36], v[115:116], v[35:36]
	v_fma_f64 v[111:112], v[91:92], s[22:23], -v[101:102]
	v_mul_f64 v[93:94], v[93:94], s[42:43]
	v_add_f64 v[27:28], v[55:56], v[27:28]
	v_mul_f64 v[55:56], v[95:96], s[16:17]
	v_add_f64 v[25:26], v[25:26], v[113:114]
	v_fma_f64 v[99:100], v[91:92], s[6:7], v[156:157]
	v_fma_f64 v[109:110], v[89:90], s[22:23], v[103:104]
	v_add_f64 v[107:108], v[129:130], v[119:120]
	v_mul_f64 v[95:96], v[95:96], s[42:43]
	v_add_f64 v[67:68], v[136:137], v[146:147]
	v_add_f64 v[39:40], v[121:122], v[39:40]
	;; [unrolled: 1-line block ×3, first 2 shown]
	v_fma_f64 v[49:50], v[89:90], s[24:25], -v[63:64]
	v_fma_f64 v[63:64], v[73:74], s[8:9], -v[188:189]
	v_add_f64 v[45:46], v[47:48], v[45:46]
	v_add_f64 v[33:34], v[53:54], v[33:34]
	v_fma_f64 v[47:48], v[89:90], s[22:23], -v[103:104]
	v_fma_f64 v[53:54], v[91:92], s[22:23], v[101:102]
	v_fma_f64 v[103:104], v[83:84], s[8:9], -v[105:106]
	v_add_f64 v[31:32], v[51:52], v[31:32]
	v_fma_f64 v[51:52], v[91:92], s[24:25], v[65:66]
	v_mul_f64 v[89:90], v[85:86], s[52:53]
	v_add_f64 v[35:36], v[97:98], v[35:36]
	v_fma_f64 v[91:92], v[83:84], s[8:9], v[105:106]
	v_fma_f64 v[105:106], v[83:84], s[12:13], -v[93:94]
	v_mul_f64 v[85:86], v[85:86], s[30:31]
	v_fma_f64 v[65:66], v[75:76], s[8:9], v[190:191]
	v_add_f64 v[25:26], v[99:100], v[25:26]
	v_add_f64 v[59:60], v[59:60], v[127:128]
	;; [unrolled: 1-line block ×3, first 2 shown]
	v_fma_f64 v[99:100], v[81:82], s[12:13], v[95:96]
	v_fma_f64 v[101:102], v[81:82], s[8:9], v[55:56]
	v_mul_f64 v[113:114], v[87:88], s[52:53]
	v_fma_f64 v[55:56], v[81:82], s[8:9], -v[55:56]
	v_add_f64 v[29:30], v[49:50], v[29:30]
	v_fma_f64 v[49:50], v[83:84], s[22:23], v[61:62]
	v_mul_f64 v[61:62], v[79:80], s[30:31]
	v_mul_f64 v[79:80], v[79:80], s[60:61]
	v_add_f64 v[45:46], v[47:48], v[45:46]
	v_add_f64 v[33:34], v[53:54], v[33:34]
	v_fma_f64 v[47:48], v[81:82], s[12:13], -v[95:96]
	v_fma_f64 v[53:54], v[83:84], s[12:13], v[93:94]
	v_add_f64 v[31:32], v[51:52], v[31:32]
	v_fma_f64 v[51:52], v[75:76], s[36:37], -v[89:90]
	v_fma_f64 v[83:84], v[75:76], s[36:37], v[89:90]
	v_add_f64 v[57:58], v[103:104], v[57:58]
	v_add_f64 v[27:28], v[63:64], v[27:28]
	v_fma_f64 v[95:96], v[75:76], s[24:25], -v[85:86]
	v_add_f64 v[63:64], v[65:66], v[67:68]
	v_add_f64 v[25:26], v[91:92], v[25:26]
	;; [unrolled: 1-line block ×4, first 2 shown]
	v_mul_f64 v[87:88], v[87:88], s[30:31]
	v_add_f64 v[59:60], v[101:102], v[59:60]
	v_fma_f64 v[93:94], v[73:74], s[36:37], v[113:114]
	v_mul_f64 v[81:82], v[77:78], s[30:31]
	v_add_f64 v[29:30], v[43:44], v[29:30]
	v_fma_f64 v[43:44], v[69:70], s[12:13], -v[182:183]
	v_add_f64 v[35:36], v[55:56], v[35:36]
	v_fma_f64 v[55:56], v[73:74], s[36:37], -v[113:114]
	v_mul_f64 v[77:78], v[77:78], s[60:61]
	v_add_f64 v[45:46], v[47:48], v[45:46]
	v_add_f64 v[33:34], v[53:54], v[33:34]
	v_fma_f64 v[53:54], v[75:76], s[24:25], v[85:86]
	v_add_f64 v[31:32], v[49:50], v[31:32]
	v_fma_f64 v[85:86], v[71:72], s[12:13], -v[194:195]
	v_add_f64 v[51:52], v[51:52], v[57:58]
	v_fma_f64 v[57:58], v[69:70], s[24:25], v[61:62]
	v_fma_f64 v[61:62], v[69:70], s[24:25], -v[61:62]
	v_fma_f64 v[49:50], v[71:72], s[12:13], v[194:195]
	v_add_f64 v[67:68], v[83:84], v[25:26]
	v_fma_f64 v[83:84], v[69:70], s[28:29], v[79:80]
	v_add_f64 v[75:76], v[95:96], v[89:90]
	v_fma_f64 v[79:80], v[69:70], s[28:29], -v[79:80]
	v_add_f64 v[39:40], v[99:100], v[39:40]
	v_fma_f64 v[91:92], v[73:74], s[24:25], v[87:88]
	v_fma_f64 v[47:48], v[73:74], s[24:25], -v[87:88]
	v_add_f64 v[95:96], v[41:42], v[29:30]
	s_clause 0x1
	buffer_load_dword v29, off, s[64:67], 0 offset:4
	buffer_load_dword v30, off, s[64:67], 0 offset:8
	v_add_f64 v[59:60], v[93:94], v[59:60]
	v_fma_f64 v[65:66], v[71:72], s[24:25], -v[81:82]
	v_add_f64 v[55:56], v[55:56], v[35:36]
	v_fma_f64 v[87:88], v[71:72], s[28:29], -v[77:78]
	v_fma_f64 v[77:78], v[71:72], s[28:29], v[77:78]
	v_fma_f64 v[81:82], v[71:72], s[24:25], v[81:82]
	;; [unrolled: 1-line block ×3, first 2 shown]
	v_add_f64 v[97:98], v[37:38], v[31:32]
	v_add_f64 v[31:32], v[178:179], v[23:24]
	;; [unrolled: 1-line block ×17, first 2 shown]
	v_mul_u32_u24_e32 v66, 0x770, v131
	v_add_f64 v[27:28], v[93:94], v[142:143]
	v_add_f64 v[53:54], v[83:84], v[73:74]
	;; [unrolled: 1-line block ×4, first 2 shown]
	s_waitcnt vmcnt(0)
	v_fma_f64 v[69:70], v[69:70], s[8:9], -v[29:30]
	s_clause 0x2
	buffer_load_dword v29, off, s[64:67], 0 offset:12
	buffer_load_dword v30, off, s[64:67], 0 offset:16
	buffer_load_dword v23, off, s[64:67], 0
	s_load_dwordx2 s[62:63], s[62:63], 0x0
	v_add_f64 v[61:62], v[69:70], v[95:96]
	s_waitcnt vmcnt(1)
	v_fma_f64 v[71:72], v[71:72], s[8:9], v[29:30]
	v_add_f64 v[29:30], v[172:173], v[158:159]
	s_waitcnt vmcnt(0)
	v_lshlrev_b32_e32 v65, 4, v23
	v_add_f64 v[23:24], v[125:126], v[123:124]
	v_add3_u32 v66, 0, v66, v65
	v_add_f64 v[63:64], v[71:72], v[97:98]
	ds_write_b128 v66, v[5:8]
	ds_write_b128 v66, v[1:4] offset:112
	ds_write_b128 v66, v[9:12] offset:224
	;; [unrolled: 1-line block ×16, first 2 shown]
	s_waitcnt lgkmcnt(0)
	s_waitcnt_vscnt null, 0x0
	s_barrier
	buffer_gl0_inv
	s_and_saveexec_b32 s33, s21
	s_cbranch_execz .LBB0_16
; %bb.15:
	v_mul_lo_u16 v1, v131, 31
	v_mov_b32_e32 v2, 8
	v_mul_u32_u24_e32 v66, 0x70, v131
	s_mul_i32 s21, s63, s20
	s_mul_hi_u32 s33, s62, s20
	v_lshrrev_b16 v1, 9, v1
	s_add_i32 s21, s33, s21
	v_add3_u32 v85, 0, v66, v65
	s_mul_i32 s20, s62, s20
	v_mul_lo_u16 v1, v1, 17
	v_sub_nc_u16 v255, v131, v1
	v_lshlrev_b32_sdwa v45, v2, v255 dst_sel:DWORD dst_unused:UNUSED_PAD src0_sel:DWORD src1_sel:BYTE_0
	s_clause 0xf
	global_load_dwordx4 v[1:4], v45, s[56:57]
	global_load_dwordx4 v[29:32], v45, s[56:57] offset:240
	global_load_dwordx4 v[21:24], v45, s[56:57] offset:16
	;; [unrolled: 1-line block ×15, first 2 shown]
	ds_read_b128 v[65:68], v85 offset:1904
	ds_read_b128 v[77:80], v85 offset:30464
	;; [unrolled: 1-line block ×10, first 2 shown]
	ds_read_b128 v[81:84], v85
	ds_read_b128 v[110:113], v85 offset:15232
	ds_read_b128 v[115:118], v85 offset:17136
	;; [unrolled: 1-line block ×6, first 2 shown]
	s_waitcnt vmcnt(15) lgkmcnt(16)
	v_mul_f64 v[135:136], v[67:68], v[3:4]
	s_waitcnt vmcnt(14) lgkmcnt(15)
	v_mul_f64 v[137:138], v[79:80], v[31:32]
	v_mul_f64 v[3:4], v[65:66], v[3:4]
	;; [unrolled: 1-line block ×3, first 2 shown]
	s_waitcnt vmcnt(13) lgkmcnt(14)
	v_mul_f64 v[139:140], v[71:72], v[23:24]
	s_waitcnt vmcnt(12) lgkmcnt(13)
	v_mul_f64 v[141:142], v[75:76], v[39:40]
	v_mul_f64 v[23:24], v[69:70], v[23:24]
	;; [unrolled: 1-line block ×3, first 2 shown]
	s_waitcnt vmcnt(11) lgkmcnt(12)
	v_mul_f64 v[143:144], v[88:89], v[27:28]
	s_waitcnt vmcnt(10) lgkmcnt(11)
	v_mul_f64 v[145:146], v[92:93], v[51:52]
	v_mul_f64 v[147:148], v[90:91], v[51:52]
	s_waitcnt vmcnt(7) lgkmcnt(5)
	v_mul_f64 v[157:158], v[112:113], v[7:8]
	v_mul_f64 v[7:8], v[110:111], v[7:8]
	;; [unrolled: 1-line block ×6, first 2 shown]
	s_waitcnt vmcnt(6) lgkmcnt(4)
	v_mul_f64 v[159:160], v[117:118], v[11:12]
	v_mul_f64 v[11:12], v[115:116], v[11:12]
	s_waitcnt vmcnt(5)
	v_mul_f64 v[161:162], v[100:101], v[55:56]
	s_waitcnt vmcnt(4)
	v_mul_f64 v[163:164], v[108:109], v[59:60]
	v_mul_f64 v[165:166], v[98:99], v[55:56]
	v_fma_f64 v[135:136], v[65:66], v[1:2], v[135:136]
	v_mul_f64 v[167:168], v[106:107], v[59:60]
	v_fma_f64 v[1:2], v[67:68], v[1:2], -v[3:4]
	v_fma_f64 v[51:52], v[79:80], v[29:30], -v[31:32]
	s_waitcnt vmcnt(3) lgkmcnt(3)
	v_mul_f64 v[169:170], v[121:122], v[15:16]
	s_waitcnt vmcnt(2) lgkmcnt(1)
	v_mul_f64 v[171:172], v[129:130], v[19:20]
	v_mul_f64 v[15:16], v[119:120], v[15:16]
	s_waitcnt vmcnt(0) lgkmcnt(0)
	v_mul_f64 v[175:176], v[133:134], v[47:48]
	v_mul_f64 v[177:178], v[131:132], v[47:48]
	v_mul_f64 v[19:20], v[127:128], v[19:20]
	v_fma_f64 v[47:48], v[77:78], v[29:30], v[137:138]
	v_fma_f64 v[3:4], v[69:70], v[21:22], v[139:140]
	v_fma_f64 v[21:22], v[71:72], v[21:22], -v[23:24]
	v_fma_f64 v[59:60], v[75:76], v[37:38], -v[39:40]
	v_fma_f64 v[23:24], v[86:87], v[25:26], v[143:144]
	v_fma_f64 v[143:144], v[112:113], v[5:6], -v[7:8]
	v_mul_f64 v[155:156], v[102:103], v[63:64]
	v_mul_f64 v[173:174], v[125:126], v[43:44]
	v_fma_f64 v[55:56], v[73:74], v[37:38], v[141:142]
	v_fma_f64 v[63:64], v[90:91], v[49:50], v[145:146]
	v_fma_f64 v[25:26], v[88:89], v[25:26], -v[27:28]
	v_fma_f64 v[49:50], v[92:93], v[49:50], -v[147:148]
	v_fma_f64 v[27:28], v[94:95], v[33:34], v[149:150]
	v_fma_f64 v[65:66], v[102:103], v[61:62], v[151:152]
	v_fma_f64 v[29:30], v[96:97], v[33:34], -v[35:36]
	v_add_f64 v[7:8], v[1:2], -v[51:52]
	v_fma_f64 v[31:32], v[98:99], v[53:54], v[161:162]
	v_fma_f64 v[33:34], v[100:101], v[53:54], -v[165:166]
	v_fma_f64 v[141:142], v[110:111], v[5:6], v[157:158]
	v_fma_f64 v[115:116], v[115:116], v[9:10], v[159:160]
	;; [unrolled: 1-line block ×3, first 2 shown]
	v_fma_f64 v[151:152], v[121:122], v[13:14], -v[15:16]
	v_fma_f64 v[101:102], v[129:130], v[17:18], -v[19:20]
	;; [unrolled: 1-line block ×3, first 2 shown]
	v_add_f64 v[5:6], v[135:136], -v[47:48]
	v_add_f64 v[15:16], v[1:2], v[51:52]
	v_add_f64 v[147:148], v[21:22], -v[59:60]
	v_add_f64 v[139:140], v[135:136], v[47:48]
	v_add_f64 v[1:2], v[83:84], v[1:2]
	;; [unrolled: 1-line block ×3, first 2 shown]
	v_mul_f64 v[43:44], v[123:124], v[43:44]
	v_fma_f64 v[35:36], v[123:124], v[41:42], v[173:174]
	v_fma_f64 v[87:88], v[131:132], v[45:46], v[175:176]
	v_add_f64 v[145:146], v[3:4], -v[55:56]
	v_add_f64 v[123:124], v[3:4], v[55:56]
	v_fma_f64 v[61:62], v[104:105], v[61:62], -v[155:156]
	v_fma_f64 v[67:68], v[106:107], v[57:58], v[163:164]
	v_mul_f64 v[17:18], v[7:8], s[16:17]
	v_mul_f64 v[135:136], v[7:8], s[18:19]
	;; [unrolled: 1-line block ×3, first 2 shown]
	v_fma_f64 v[149:150], v[119:120], v[13:14], v[169:170]
	v_add_f64 v[129:130], v[23:24], -v[63:64]
	v_add_f64 v[119:120], v[27:28], -v[65:66]
	v_add_f64 v[111:112], v[23:24], v[63:64]
	v_add_f64 v[103:104], v[27:28], v[65:66]
	v_mul_f64 v[227:228], v[7:8], s[34:35]
	v_mul_f64 v[11:12], v[5:6], s[16:17]
	;; [unrolled: 1-line block ×5, first 2 shown]
	v_add_f64 v[1:2], v[1:2], v[21:22]
	v_add_f64 v[3:4], v[9:10], v[3:4]
	v_fma_f64 v[37:38], v[125:126], v[41:42], -v[43:44]
	v_add_f64 v[125:126], v[21:22], v[59:60]
	v_mul_f64 v[159:160], v[147:148], s[42:43]
	v_mul_f64 v[19:20], v[145:146], s[40:41]
	;; [unrolled: 1-line block ×5, first 2 shown]
	v_fma_f64 v[221:222], v[139:140], s[8:9], -v[17:18]
	v_fma_f64 v[239:240], v[139:140], s[14:15], -v[135:136]
	v_fma_f64 v[135:136], v[139:140], s[14:15], v[135:136]
	v_add_f64 v[117:118], v[29:30], -v[61:62]
	v_add_f64 v[105:106], v[29:30], v[61:62]
	v_mul_f64 v[203:204], v[147:148], s[44:45]
	v_mul_f64 v[217:218], v[145:146], s[46:47]
	;; [unrolled: 1-line block ×3, first 2 shown]
	v_fma_f64 v[17:18], v[139:140], s[8:9], v[17:18]
	v_fma_f64 v[211:212], v[15:16], s[8:9], v[11:12]
	v_fma_f64 v[11:12], v[15:16], s[8:9], -v[11:12]
	v_fma_f64 v[231:232], v[15:16], s[14:15], v[131:132]
	v_fma_f64 v[131:132], v[15:16], s[14:15], -v[131:132]
	v_add_f64 v[1:2], v[1:2], v[25:26]
	v_add_f64 v[3:4], v[3:4], v[23:24]
	v_fma_f64 v[243:244], v[123:124], s[6:7], -v[39:40]
	v_fma_f64 v[247:248], v[15:16], s[22:23], v[195:196]
	v_mul_f64 v[233:234], v[5:6], s[38:39]
	v_mul_f64 v[235:236], v[7:8], s[38:39]
	v_fma_f64 v[23:24], v[125:126], s[6:7], v[19:20]
	v_fma_f64 v[19:20], v[125:126], s[6:7], -v[19:20]
	v_fma_f64 v[245:246], v[125:126], s[12:13], v[157:158]
	v_add_f64 v[221:222], v[81:82], v[221:222]
	v_fma_f64 v[249:250], v[123:124], s[12:13], -v[159:160]
	v_fma_f64 v[157:158], v[125:126], s[12:13], -v[157:158]
	v_fma_f64 v[159:160], v[123:124], s[12:13], v[159:160]
	v_fma_f64 v[195:196], v[15:16], s[22:23], -v[195:196]
	v_add_f64 v[239:240], v[81:82], v[239:240]
	v_add_f64 v[135:136], v[81:82], v[135:136]
	v_add_f64 v[127:128], v[25:26], -v[49:50]
	v_add_f64 v[113:114], v[25:26], v[49:50]
	v_add_f64 v[211:212], v[83:84], v[211:212]
	v_add_f64 v[11:12], v[83:84], v[11:12]
	v_mul_f64 v[219:220], v[7:8], s[30:31]
	v_add_f64 v[131:132], v[83:84], v[131:132]
	v_add_f64 v[1:2], v[1:2], v[29:30]
	v_fma_f64 v[29:30], v[139:140], s[22:23], -v[201:202]
	v_add_f64 v[3:4], v[3:4], v[27:28]
	v_fma_f64 v[27:28], v[125:126], s[24:25], v[199:200]
	v_fma_f64 v[201:202], v[139:140], s[22:23], v[201:202]
	v_add_f64 v[247:248], v[83:84], v[247:248]
	v_mul_f64 v[229:230], v[145:146], s[16:17]
	v_mul_f64 v[25:26], v[147:148], s[16:17]
	;; [unrolled: 1-line block ×3, first 2 shown]
	v_add_f64 v[221:222], v[243:244], v[221:222]
	v_fma_f64 v[243:244], v[15:16], s[24:25], v[215:216]
	v_mul_f64 v[241:242], v[147:148], s[26:27]
	v_fma_f64 v[39:40], v[123:124], s[6:7], v[39:40]
	v_add_f64 v[17:18], v[81:82], v[17:18]
	v_fma_f64 v[199:200], v[125:126], s[24:25], -v[199:200]
	v_add_f64 v[195:196], v[83:84], v[195:196]
	v_add_f64 v[239:240], v[249:250], v[239:240]
	v_fma_f64 v[249:250], v[15:16], s[28:29], v[225:226]
	v_add_f64 v[23:24], v[23:24], v[211:212]
	v_fma_f64 v[211:212], v[123:124], s[24:25], -v[203:204]
	v_fma_f64 v[203:204], v[123:124], s[24:25], v[203:204]
	v_add_f64 v[11:12], v[19:20], v[11:12]
	v_fma_f64 v[19:20], v[125:126], s[14:15], v[217:218]
	v_add_f64 v[29:30], v[81:82], v[29:30]
	v_add_f64 v[131:132], v[157:158], v[131:132]
	v_fma_f64 v[157:158], v[139:140], s[28:29], -v[227:228]
	v_fma_f64 v[225:226], v[15:16], s[28:29], -v[225:226]
	v_fma_f64 v[227:228], v[139:140], s[28:29], v[227:228]
	v_add_f64 v[201:202], v[81:82], v[201:202]
	v_add_f64 v[135:136], v[159:160], v[135:136]
	v_fma_f64 v[159:160], v[15:16], s[12:13], v[233:234]
	v_add_f64 v[27:28], v[27:28], v[247:248]
	v_add_f64 v[243:244], v[83:84], v[243:244]
	v_fma_f64 v[247:248], v[139:140], s[12:13], -v[235:236]
	v_fma_f64 v[233:234], v[15:16], s[12:13], -v[233:234]
	v_fma_f64 v[235:236], v[139:140], s[12:13], v[235:236]
	v_fma_f64 v[57:58], v[108:109], v[57:58], -v[167:168]
	v_mul_f64 v[41:42], v[129:130], s[18:19]
	v_mul_f64 v[165:166], v[129:130], s[34:35]
	;; [unrolled: 1-line block ×5, first 2 shown]
	v_add_f64 v[231:232], v[83:84], v[231:232]
	v_add_f64 v[17:18], v[39:40], v[17:18]
	v_fma_f64 v[39:40], v[139:140], s[24:25], -v[219:220]
	v_add_f64 v[29:30], v[211:212], v[29:30]
	v_fma_f64 v[211:212], v[125:126], s[8:9], v[229:230]
	v_add_f64 v[195:196], v[199:200], v[195:196]
	v_fma_f64 v[199:200], v[123:124], s[8:9], -v[25:26]
	v_add_f64 v[249:250], v[83:84], v[249:250]
	v_fma_f64 v[229:230], v[125:126], s[8:9], -v[229:230]
	v_fma_f64 v[25:26], v[123:124], s[8:9], v[25:26]
	v_add_f64 v[225:226], v[83:84], v[225:226]
	v_add_f64 v[227:228], v[81:82], v[227:228]
	;; [unrolled: 1-line block ×3, first 2 shown]
	v_fma_f64 v[203:204], v[125:126], s[22:23], v[237:238]
	v_add_f64 v[19:20], v[19:20], v[243:244]
	v_fma_f64 v[243:244], v[123:124], s[22:23], -v[241:242]
	v_add_f64 v[159:160], v[83:84], v[159:160]
	v_fma_f64 v[237:238], v[125:126], s[22:23], -v[237:238]
	v_add_f64 v[247:248], v[81:82], v[247:248]
	v_fma_f64 v[241:242], v[123:124], s[22:23], v[241:242]
	v_add_f64 v[233:234], v[83:84], v[233:234]
	v_add_f64 v[235:236], v[81:82], v[235:236]
	v_add_f64 v[109:110], v[31:32], -v[67:68]
	v_add_f64 v[107:108], v[33:34], -v[57:58]
	v_add_f64 v[93:94], v[33:34], v[57:58]
	v_add_f64 v[91:92], v[31:32], v[67:68]
	v_mul_f64 v[43:44], v[127:128], s[18:19]
	v_add_f64 v[231:232], v[245:246], v[231:232]
	v_fma_f64 v[245:246], v[123:124], s[14:15], -v[223:224]
	v_fma_f64 v[215:216], v[15:16], s[24:25], -v[215:216]
	v_add_f64 v[39:40], v[81:82], v[39:40]
	v_add_f64 v[157:158], v[81:82], v[157:158]
	v_add_f64 v[211:212], v[211:212], v[249:250]
	v_fma_f64 v[249:250], v[113:114], s[14:15], v[41:42]
	v_add_f64 v[225:226], v[229:230], v[225:226]
	v_mul_f64 v[229:230], v[129:130], s[52:53]
	v_add_f64 v[25:26], v[25:26], v[227:228]
	v_mul_f64 v[227:228], v[127:128], s[52:53]
	v_fma_f64 v[41:42], v[113:114], s[14:15], -v[41:42]
	v_add_f64 v[159:160], v[203:204], v[159:160]
	v_fma_f64 v[203:204], v[113:114], s[28:29], v[165:166]
	v_add_f64 v[243:244], v[243:244], v[247:248]
	v_fma_f64 v[247:248], v[111:112], s[28:29], -v[167:168]
	v_add_f64 v[233:234], v[237:238], v[233:234]
	v_mul_f64 v[237:238], v[129:130], s[44:45]
	v_add_f64 v[235:236], v[241:242], v[235:236]
	v_mul_f64 v[241:242], v[127:128], s[44:45]
	v_fma_f64 v[165:166], v[113:114], s[28:29], -v[165:166]
	v_fma_f64 v[167:168], v[111:112], s[28:29], v[167:168]
	v_add_f64 v[1:2], v[1:2], v[33:34]
	v_fma_f64 v[33:34], v[113:114], s[6:7], v[205:206]
	v_add_f64 v[3:4], v[3:4], v[31:32]
	v_mul_f64 v[31:32], v[129:130], s[54:55]
	v_fma_f64 v[205:206], v[113:114], s[6:7], -v[205:206]
	v_fma_f64 v[89:90], v[133:134], v[45:46], -v[177:178]
	v_mul_f64 v[133:134], v[119:120], s[52:53]
	v_mul_f64 v[137:138], v[117:118], s[52:53]
	;; [unrolled: 1-line block ×4, first 2 shown]
	v_fma_f64 v[219:220], v[139:140], s[24:25], v[219:220]
	v_fma_f64 v[217:218], v[125:126], s[14:15], -v[217:218]
	v_add_f64 v[215:216], v[83:84], v[215:216]
	v_add_f64 v[39:40], v[245:246], v[39:40]
	;; [unrolled: 1-line block ×3, first 2 shown]
	v_fma_f64 v[199:200], v[111:112], s[14:15], -v[43:44]
	v_fma_f64 v[43:44], v[111:112], s[14:15], v[43:44]
	v_add_f64 v[11:12], v[41:42], v[11:12]
	v_fma_f64 v[41:42], v[113:114], s[36:37], v[229:230]
	v_add_f64 v[203:204], v[203:204], v[231:232]
	v_fma_f64 v[231:232], v[111:112], s[36:37], -v[227:228]
	v_add_f64 v[131:132], v[165:166], v[131:132]
	v_fma_f64 v[165:166], v[113:114], s[24:25], v[237:238]
	v_add_f64 v[135:136], v[167:168], v[135:136]
	v_fma_f64 v[167:168], v[111:112], s[24:25], -v[241:242]
	v_mul_f64 v[9:10], v[119:120], s[18:19]
	v_add_f64 v[195:196], v[205:206], v[195:196]
	v_fma_f64 v[205:206], v[113:114], s[8:9], v[31:32]
	v_mul_f64 v[209:210], v[117:118], s[18:19]
	v_fma_f64 v[223:224], v[123:124], s[14:15], v[223:224]
	v_add_f64 v[23:24], v[249:250], v[23:24]
	v_fma_f64 v[249:250], v[111:112], s[6:7], -v[207:208]
	v_add_f64 v[219:220], v[81:82], v[219:220]
	v_fma_f64 v[207:208], v[111:112], s[6:7], v[207:208]
	v_add_f64 v[215:216], v[217:218], v[215:216]
	v_fma_f64 v[229:230], v[113:114], s[36:37], -v[229:230]
	v_add_f64 v[97:98], v[35:36], -v[87:88]
	v_add_f64 v[199:200], v[199:200], v[221:222]
	v_mul_f64 v[221:222], v[127:128], s[54:55]
	v_add_f64 v[17:18], v[43:44], v[17:18]
	v_add_f64 v[19:20], v[41:42], v[19:20]
	v_mul_f64 v[41:42], v[119:120], s[38:39]
	v_add_f64 v[39:40], v[231:232], v[39:40]
	v_mul_f64 v[231:232], v[117:118], s[38:39]
	v_add_f64 v[165:166], v[165:166], v[211:212]
	v_fma_f64 v[211:212], v[105:106], s[36:37], v[133:134]
	v_add_f64 v[157:158], v[167:168], v[157:158]
	v_fma_f64 v[167:168], v[103:104], s[36:37], -v[137:138]
	v_fma_f64 v[133:134], v[105:106], s[36:37], -v[133:134]
	v_fma_f64 v[137:138], v[103:104], s[36:37], v[137:138]
	v_add_f64 v[159:160], v[205:206], v[159:160]
	v_fma_f64 v[205:206], v[105:106], s[22:23], v[175:176]
	v_add_f64 v[95:96], v[37:38], -v[89:90]
	v_add_f64 v[77:78], v[37:38], v[89:90]
	v_add_f64 v[75:76], v[35:36], v[87:88]
	v_mul_f64 v[155:156], v[109:110], s[26:27]
	v_mul_f64 v[161:162], v[107:108], s[26:27]
	;; [unrolled: 1-line block ×3, first 2 shown]
	v_add_f64 v[219:220], v[223:224], v[219:220]
	v_fma_f64 v[227:228], v[111:112], s[36:37], v[227:228]
	v_add_f64 v[27:28], v[33:34], v[27:28]
	v_add_f64 v[201:202], v[207:208], v[201:202]
	v_fma_f64 v[207:208], v[111:112], s[8:9], -v[221:222]
	v_fma_f64 v[31:32], v[113:114], s[8:9], -v[31:32]
	v_fma_f64 v[221:222], v[111:112], s[8:9], v[221:222]
	v_add_f64 v[215:216], v[229:230], v[215:216]
	v_add_f64 v[251:252], v[1:2], v[37:38]
	v_fma_f64 v[1:2], v[105:106], s[14:15], v[9:10]
	v_add_f64 v[253:254], v[3:4], v[35:36]
	v_mul_f64 v[3:4], v[117:118], s[40:41]
	v_fma_f64 v[35:36], v[103:104], s[14:15], -v[209:210]
	v_add_f64 v[37:38], v[167:168], v[199:200]
	v_mul_f64 v[167:168], v[119:120], s[44:45]
	v_fma_f64 v[9:10], v[105:106], s[14:15], -v[9:10]
	v_fma_f64 v[199:200], v[103:104], s[14:15], v[209:210]
	v_add_f64 v[11:12], v[133:134], v[11:12]
	v_fma_f64 v[133:134], v[105:106], s[12:13], v[41:42]
	v_add_f64 v[17:18], v[137:138], v[17:18]
	v_mul_f64 v[209:210], v[117:118], s[44:45]
	v_add_f64 v[137:138], v[205:206], v[203:204]
	v_fma_f64 v[203:204], v[103:104], s[12:13], -v[231:232]
	v_fma_f64 v[41:42], v[105:106], s[12:13], -v[41:42]
	v_mul_f64 v[181:182], v[109:110], s[50:51]
	v_mul_f64 v[213:214], v[109:110], s[60:61]
	v_mul_f64 v[217:218], v[107:108], s[60:61]
	v_add_f64 v[239:240], v[247:248], v[239:240]
	v_fma_f64 v[237:238], v[113:114], s[24:25], -v[237:238]
	v_fma_f64 v[241:242], v[111:112], s[24:25], v[241:242]
	v_add_f64 v[219:220], v[227:228], v[219:220]
	v_mul_f64 v[227:228], v[107:108], s[16:17]
	v_add_f64 v[207:208], v[207:208], v[243:244]
	v_add_f64 v[31:32], v[31:32], v[233:234]
	v_fma_f64 v[233:234], v[103:104], s[22:23], -v[177:178]
	v_add_f64 v[221:222], v[221:222], v[235:236]
	v_mul_f64 v[235:236], v[119:120], s[40:41]
	v_fma_f64 v[175:176], v[105:106], s[22:23], -v[175:176]
	v_add_f64 v[23:24], v[211:212], v[23:24]
	v_fma_f64 v[231:232], v[103:104], s[12:13], v[231:232]
	v_add_f64 v[1:2], v[1:2], v[27:28]
	v_fma_f64 v[27:28], v[103:104], s[6:7], -v[3:4]
	v_add_f64 v[9:10], v[9:10], v[195:196]
	v_fma_f64 v[195:196], v[105:106], s[24:25], v[167:168]
	v_add_f64 v[19:20], v[133:134], v[19:20]
	v_fma_f64 v[133:134], v[103:104], s[24:25], -v[209:210]
	v_fma_f64 v[167:168], v[105:106], s[24:25], -v[167:168]
	v_add_f64 v[39:40], v[203:204], v[39:40]
	v_fma_f64 v[203:204], v[93:94], s[22:23], v[155:156]
	v_add_f64 v[41:42], v[41:42], v[215:216]
	v_fma_f64 v[215:216], v[91:92], s[22:23], -v[161:162]
	v_fma_f64 v[161:162], v[91:92], s[22:23], v[161:162]
	v_mul_f64 v[163:164], v[97:98], s[42:43]
	v_mul_f64 v[169:170], v[95:96], s[42:43]
	v_mul_f64 v[183:184], v[107:108], s[50:51]
	v_add_f64 v[29:30], v[249:250], v[29:30]
	v_mul_f64 v[229:230], v[109:110], s[16:17]
	v_add_f64 v[225:226], v[237:238], v[225:226]
	v_add_f64 v[25:26], v[241:242], v[25:26]
	;; [unrolled: 1-line block ×4, first 2 shown]
	v_fma_f64 v[175:176], v[105:106], s[6:7], v[235:236]
	v_fma_f64 v[233:234], v[105:106], s[6:7], -v[235:236]
	v_fma_f64 v[3:4], v[103:104], s[6:7], v[3:4]
	v_add_f64 v[199:200], v[199:200], v[201:202]
	v_mul_f64 v[201:202], v[109:110], s[38:39]
	v_add_f64 v[219:220], v[231:232], v[219:220]
	v_mul_f64 v[231:232], v[107:108], s[38:39]
	v_fma_f64 v[155:156], v[93:94], s[22:23], -v[155:156]
	v_add_f64 v[27:28], v[27:28], v[157:158]
	v_fma_f64 v[157:158], v[93:94], s[6:7], v[181:182]
	v_fma_f64 v[181:182], v[93:94], s[6:7], -v[181:182]
	v_add_f64 v[207:208], v[133:134], v[207:208]
	v_fma_f64 v[133:134], v[93:94], s[28:29], v[213:214]
	v_add_f64 v[167:168], v[167:168], v[31:32]
	v_mul_f64 v[31:32], v[109:110], s[52:53]
	v_add_f64 v[23:24], v[203:204], v[23:24]
	v_fma_f64 v[203:204], v[91:92], s[28:29], -v[217:218]
	v_add_f64 v[37:38], v[215:216], v[37:38]
	v_mul_f64 v[215:216], v[107:108], s[52:53]
	v_fma_f64 v[213:214], v[93:94], s[28:29], -v[213:214]
	v_fma_f64 v[217:218], v[91:92], s[28:29], v[217:218]
	v_add_f64 v[17:18], v[161:162], v[17:18]
	v_fma_f64 v[161:162], v[91:92], s[8:9], -v[227:228]
	v_add_f64 v[85:86], v[149:150], -v[99:100]
	v_add_f64 v[79:80], v[151:152], -v[101:102]
	v_mul_f64 v[187:188], v[97:98], s[16:17]
	v_mul_f64 v[189:190], v[95:96], s[16:17]
	;; [unrolled: 1-line block ×4, first 2 shown]
	v_fma_f64 v[177:178], v[103:104], s[22:23], v[177:178]
	v_add_f64 v[29:30], v[35:36], v[29:30]
	v_add_f64 v[165:166], v[175:176], v[165:166]
	;; [unrolled: 1-line block ×4, first 2 shown]
	v_fma_f64 v[25:26], v[91:92], s[6:7], -v[183:184]
	v_add_f64 v[159:160], v[195:196], v[159:160]
	v_add_f64 v[11:12], v[155:156], v[11:12]
	v_fma_f64 v[155:156], v[93:94], s[8:9], v[229:230]
	v_add_f64 v[157:158], v[157:158], v[137:138]
	v_fma_f64 v[137:138], v[93:94], s[8:9], -v[229:230]
	v_fma_f64 v[227:228], v[91:92], s[8:9], v[227:228]
	v_add_f64 v[131:132], v[181:182], v[131:132]
	v_fma_f64 v[181:182], v[93:94], s[12:13], v[201:202]
	v_fma_f64 v[229:230], v[91:92], s[12:13], -v[231:232]
	v_fma_f64 v[201:202], v[93:94], s[12:13], -v[201:202]
	v_add_f64 v[9:10], v[213:214], v[9:10]
	v_fma_f64 v[213:214], v[93:94], s[36:37], v[31:32]
	v_add_f64 v[199:200], v[217:218], v[199:200]
	v_fma_f64 v[217:218], v[91:92], s[36:37], -v[215:216]
	v_add_f64 v[39:40], v[161:162], v[39:40]
	v_fma_f64 v[161:162], v[77:78], s[12:13], v[163:164]
	v_fma_f64 v[153:154], v[75:76], s[12:13], -v[169:170]
	v_fma_f64 v[169:170], v[75:76], s[12:13], v[169:170]
	v_add_f64 v[69:70], v[151:152], v[101:102]
	v_add_f64 v[53:54], v[149:150], v[99:100]
	v_add_f64 v[73:74], v[143:144], -v[121:122]
	v_mul_f64 v[171:172], v[85:86], s[30:31]
	v_mul_f64 v[173:174], v[79:80], s[30:31]
	;; [unrolled: 1-line block ×6, first 2 shown]
	v_add_f64 v[135:136], v[177:178], v[135:136]
	v_mul_f64 v[175:176], v[97:98], s[18:19]
	v_mul_f64 v[233:234], v[95:96], s[18:19]
	v_fma_f64 v[183:184], v[91:92], s[6:7], v[183:184]
	v_add_f64 v[25:26], v[25:26], v[205:206]
	v_add_f64 v[1:2], v[133:134], v[1:2]
	v_fma_f64 v[231:232], v[91:92], s[12:13], v[231:232]
	v_add_f64 v[29:30], v[203:204], v[29:30]
	v_add_f64 v[219:220], v[227:228], v[219:220]
	v_fma_f64 v[163:164], v[77:78], s[12:13], -v[163:164]
	v_add_f64 v[165:166], v[181:182], v[165:166]
	v_add_f64 v[27:28], v[229:230], v[27:28]
	v_fma_f64 v[181:182], v[77:78], s[8:9], v[187:188]
	v_add_f64 v[201:202], v[201:202], v[225:226]
	v_fma_f64 v[225:226], v[75:76], s[8:9], -v[189:190]
	v_add_f64 v[159:160], v[213:214], v[159:160]
	v_mul_f64 v[213:214], v[5:6], s[48:49]
	v_add_f64 v[207:208], v[217:218], v[207:208]
	v_mul_f64 v[217:218], v[7:8], s[48:49]
	v_mul_f64 v[227:228], v[5:6], s[50:51]
	;; [unrolled: 1-line block ×3, first 2 shown]
	v_add_f64 v[5:6], v[161:162], v[23:24]
	v_fma_f64 v[7:8], v[77:78], s[36:37], v[245:246]
	v_add_f64 v[23:24], v[153:154], v[37:38]
	v_fma_f64 v[37:38], v[75:76], s[36:37], -v[223:224]
	v_fma_f64 v[161:162], v[77:78], s[36:37], -v[245:246]
	v_add_f64 v[17:18], v[169:170], v[17:18]
	v_fma_f64 v[169:170], v[75:76], s[36:37], v[223:224]
	v_add_f64 v[71:72], v[141:142], -v[115:116]
	v_add_f64 v[13:14], v[141:142], v[115:116]
	v_mul_f64 v[21:22], v[73:74], s[30:31]
	v_mul_f64 v[43:44], v[85:86], s[16:17]
	;; [unrolled: 1-line block ×8, first 2 shown]
	v_add_f64 v[183:184], v[183:184], v[135:136]
	v_mul_f64 v[203:204], v[97:98], s[50:51]
	v_add_f64 v[19:20], v[155:156], v[19:20]
	v_mul_f64 v[155:156], v[95:96], s[50:51]
	v_add_f64 v[41:42], v[137:138], v[41:42]
	v_add_f64 v[3:4], v[231:232], v[3:4]
	v_fma_f64 v[187:188], v[77:78], s[8:9], -v[187:188]
	v_fma_f64 v[189:190], v[75:76], s[8:9], v[189:190]
	v_add_f64 v[11:12], v[163:164], v[11:12]
	v_fma_f64 v[153:154], v[69:70], s[24:25], v[171:172]
	v_fma_f64 v[163:164], v[53:54], s[24:25], -v[173:174]
	v_add_f64 v[157:158], v[181:182], v[157:158]
	v_fma_f64 v[181:182], v[77:78], s[28:29], v[237:238]
	v_add_f64 v[25:26], v[225:226], v[25:26]
	v_fma_f64 v[223:224], v[75:76], s[28:29], -v[241:242]
	v_fma_f64 v[171:172], v[69:70], s[24:25], -v[171:172]
	v_fma_f64 v[173:174], v[53:54], s[24:25], v[173:174]
	v_fma_f64 v[225:226], v[77:78], s[28:29], -v[237:238]
	v_fma_f64 v[231:232], v[75:76], s[28:29], v[241:242]
	v_add_f64 v[1:2], v[7:8], v[1:2]
	v_fma_f64 v[7:8], v[77:78], s[14:15], v[175:176]
	v_add_f64 v[29:30], v[37:38], v[29:30]
	v_fma_f64 v[37:38], v[75:76], s[14:15], -v[233:234]
	v_add_f64 v[9:10], v[161:162], v[9:10]
	v_fma_f64 v[161:162], v[69:70], s[36:37], v[191:192]
	v_fma_f64 v[175:176], v[77:78], s[14:15], -v[175:176]
	v_fma_f64 v[233:234], v[75:76], s[14:15], v[233:234]
	v_add_f64 v[169:170], v[169:170], v[199:200]
	v_fma_f64 v[199:200], v[53:54], s[36:37], -v[193:194]
	v_add_f64 v[45:46], v[143:144], v[121:122]
	v_mul_f64 v[179:180], v[71:72], s[60:61]
	v_mul_f64 v[185:186], v[73:74], s[60:61]
	;; [unrolled: 1-line block ×10, first 2 shown]
	v_add_f64 v[131:132], v[187:188], v[131:132]
	v_add_f64 v[183:184], v[189:190], v[183:184]
	;; [unrolled: 1-line block ×4, first 2 shown]
	v_fma_f64 v[223:224], v[13:14], s[24:25], -v[21:22]
	v_fma_f64 v[191:192], v[69:70], s[36:37], -v[191:192]
	v_fma_f64 v[193:194], v[53:54], s[36:37], v[193:194]
	v_fma_f64 v[237:238], v[13:14], s[24:25], v[21:22]
	v_add_f64 v[21:22], v[225:226], v[41:42]
	v_fma_f64 v[41:42], v[69:70], s[8:9], v[43:44]
	v_add_f64 v[219:220], v[231:232], v[219:220]
	v_fma_f64 v[43:44], v[69:70], s[8:9], -v[43:44]
	v_fma_f64 v[231:232], v[53:54], s[8:9], v[247:248]
	v_add_f64 v[175:176], v[175:176], v[201:202]
	v_fma_f64 v[201:202], v[69:70], s[6:7], v[243:244]
	v_add_f64 v[3:4], v[233:234], v[3:4]
	v_fma_f64 v[233:234], v[53:54], s[6:7], -v[211:212]
	v_add_f64 v[23:24], v[163:164], v[23:24]
	v_fma_f64 v[163:164], v[13:14], s[22:23], -v[35:36]
	v_fma_f64 v[245:246], v[13:14], s[22:23], v[35:36]
	v_add_f64 v[11:12], v[171:172], v[11:12]
	v_fma_f64 v[35:36], v[69:70], s[22:23], v[195:196]
	v_add_f64 v[171:172], v[173:174], v[17:18]
	v_fma_f64 v[173:174], v[69:70], s[22:23], -v[195:196]
	v_fma_f64 v[195:196], v[53:54], s[22:23], v[235:236]
	v_add_f64 v[157:158], v[161:162], v[157:158]
	v_fma_f64 v[161:162], v[77:78], s[6:7], v[203:204]
	v_add_f64 v[199:200], v[199:200], v[25:26]
	v_fma_f64 v[25:26], v[75:76], s[6:7], -v[155:156]
	v_mul_f64 v[137:138], v[71:72], s[18:19]
	v_fma_f64 v[187:188], v[45:46], s[28:29], v[179:180]
	v_fma_f64 v[189:190], v[13:14], s[28:29], -v[185:186]
	v_fma_f64 v[179:180], v[45:46], s[28:29], -v[179:180]
	v_fma_f64 v[185:186], v[13:14], s[28:29], v[185:186]
	v_fma_f64 v[181:182], v[45:46], s[24:25], v[197:198]
	v_fma_f64 v[197:198], v[45:46], s[24:25], -v[197:198]
	v_fma_f64 v[225:226], v[53:54], s[8:9], -v[247:248]
	v_add_f64 v[7:8], v[7:8], v[165:166]
	v_fma_f64 v[165:166], v[45:46], s[12:13], v[33:34]
	v_add_f64 v[27:28], v[37:38], v[27:28]
	v_fma_f64 v[241:242], v[69:70], s[6:7], -v[243:244]
	v_fma_f64 v[211:212], v[53:54], s[6:7], v[211:212]
	v_fma_f64 v[33:34], v[45:46], s[12:13], -v[33:34]
	v_fma_f64 v[243:244], v[13:14], s[12:13], v[249:250]
	v_add_f64 v[5:6], v[153:154], v[5:6]
	v_fma_f64 v[153:154], v[45:46], s[22:23], v[177:178]
	v_fma_f64 v[17:18], v[53:54], s[22:23], -v[235:236]
	v_add_f64 v[131:132], v[191:192], v[131:132]
	v_fma_f64 v[191:192], v[45:46], s[36:37], v[205:206]
	v_add_f64 v[183:184], v[193:194], v[183:184]
	v_fma_f64 v[193:194], v[13:14], s[36:37], -v[239:240]
	v_fma_f64 v[205:206], v[45:46], s[36:37], -v[205:206]
	v_fma_f64 v[235:236], v[13:14], s[36:37], v[239:240]
	v_add_f64 v[1:2], v[41:42], v[1:2]
	v_fma_f64 v[41:42], v[69:70], s[28:29], v[133:134]
	v_fma_f64 v[209:210], v[103:104], s[24:25], v[209:210]
	v_fma_f64 v[239:240], v[53:54], s[28:29], -v[135:136]
	v_fma_f64 v[247:248], v[93:94], s[36:37], -v[31:32]
	v_add_f64 v[43:44], v[43:44], v[9:10]
	v_add_f64 v[169:170], v[231:232], v[169:170]
	;; [unrolled: 1-line block ×8, first 2 shown]
	v_fma_f64 v[177:178], v[45:46], s[22:23], -v[177:178]
	v_add_f64 v[225:226], v[225:226], v[29:30]
	v_add_f64 v[231:232], v[241:242], v[21:22]
	v_add_f64 v[211:212], v[211:212], v[219:220]
	v_add_f64 v[219:220], v[35:36], v[7:8]
	v_add_f64 v[233:234], v[17:18], v[27:28]
	v_add_f64 v[19:20], v[187:188], v[5:6]
	v_add_f64 v[17:18], v[189:190], v[23:24]
	v_add_f64 v[27:28], v[179:180], v[11:12]
	v_add_f64 v[25:26], v[185:186], v[171:172]
	v_add_f64 v[23:24], v[181:182], v[157:158]
	v_add_f64 v[31:32], v[197:198], v[131:132]
	v_add_f64 v[29:30], v[237:238], v[183:184]
	v_add_f64 v[11:12], v[165:166], v[1:2]
	v_add_f64 v[35:36], v[33:34], v[43:44]
	v_add_f64 v[33:34], v[243:244], v[169:170]
	v_add_f64 v[7:8], v[153:154], v[201:202]
	v_add_f64 v[5:6], v[163:164], v[39:40]
	v_add_f64 v[43:44], v[205:206], v[173:174]
	v_add_f64 v[153:154], v[41:42], v[159:160]
	v_fma_f64 v[157:158], v[45:46], s[14:15], v[137:138]
	v_fma_f64 v[159:160], v[91:92], s[36:37], v[215:216]
	v_add_f64 v[163:164], v[209:210], v[221:222]
	v_add_f64 v[41:42], v[235:236], v[175:176]
	;; [unrolled: 1-line block ×4, first 2 shown]
	v_mul_f64 v[151:152], v[145:146], s[34:35]
	v_fma_f64 v[165:166], v[15:16], s[36:37], v[213:214]
	v_add_f64 v[169:170], v[253:254], v[149:150]
	v_add_f64 v[149:150], v[247:248], v[167:168]
	v_fma_f64 v[167:168], v[139:140], s[36:37], -v[217:218]
	v_fma_f64 v[171:172], v[15:16], s[36:37], -v[213:214]
	v_fma_f64 v[173:174], v[139:140], s[36:37], v[217:218]
	v_fma_f64 v[175:176], v[15:16], s[6:7], v[227:228]
	v_fma_f64 v[179:180], v[15:16], s[6:7], -v[227:228]
	v_mul_f64 v[183:184], v[147:148], s[34:35]
	v_add_f64 v[39:40], v[177:178], v[231:232]
	v_fma_f64 v[177:178], v[139:140], s[6:7], -v[229:230]
	v_fma_f64 v[181:182], v[139:140], s[6:7], v[229:230]
	v_fma_f64 v[155:156], v[75:76], s[6:7], v[155:156]
	v_fma_f64 v[137:138], v[45:46], s[14:15], -v[137:138]
	v_fma_f64 v[133:134], v[69:70], s[28:29], -v[133:134]
	v_add_f64 v[15:16], v[157:158], v[153:154]
	v_fma_f64 v[153:154], v[77:78], s[6:7], -v[203:204]
	v_add_f64 v[157:158], v[159:160], v[163:164]
	v_mul_f64 v[159:160], v[145:146], s[48:49]
	v_mul_f64 v[145:146], v[129:130], s[26:27]
	;; [unrolled: 1-line block ×3, first 2 shown]
	v_add_f64 v[147:148], v[161:162], v[143:144]
	v_fma_f64 v[143:144], v[125:126], s[28:29], v[151:152]
	v_add_f64 v[161:162], v[83:84], v[165:166]
	v_add_f64 v[141:142], v[169:170], v[141:142]
	v_mul_f64 v[165:166], v[127:128], s[26:27]
	v_add_f64 v[167:168], v[81:82], v[167:168]
	v_add_f64 v[169:170], v[83:84], v[171:172]
	;; [unrolled: 1-line block ×5, first 2 shown]
	v_fma_f64 v[179:180], v[123:124], s[28:29], -v[183:184]
	v_add_f64 v[175:176], v[81:82], v[177:178]
	v_add_f64 v[177:178], v[81:82], v[181:182]
	v_fma_f64 v[151:152], v[125:126], s[28:29], -v[151:152]
	v_fma_f64 v[181:182], v[123:124], s[28:29], v[183:184]
	v_mul_f64 v[129:130], v[129:130], s[38:39]
	v_mul_f64 v[127:128], v[127:128], s[38:39]
	v_add_f64 v[149:150], v[153:154], v[149:150]
	v_add_f64 v[155:156], v[155:156], v[157:158]
	v_fma_f64 v[153:154], v[125:126], s[36:37], v[159:160]
	v_fma_f64 v[125:126], v[125:126], s[36:37], -v[159:160]
	v_fma_f64 v[159:160], v[123:124], s[36:37], -v[163:164]
	v_mul_f64 v[157:158], v[119:120], s[16:17]
	v_fma_f64 v[123:124], v[123:124], s[36:37], v[163:164]
	v_add_f64 v[121:122], v[147:148], v[121:122]
	v_add_f64 v[115:116], v[141:142], v[115:116]
	v_fma_f64 v[141:142], v[113:114], s[22:23], v[145:146]
	v_add_f64 v[143:144], v[143:144], v[161:162]
	v_mul_f64 v[147:148], v[117:118], s[16:17]
	v_fma_f64 v[161:162], v[111:112], s[22:23], -v[165:166]
	v_fma_f64 v[145:146], v[113:114], s[22:23], -v[145:146]
	v_fma_f64 v[165:166], v[111:112], s[22:23], v[165:166]
	v_add_f64 v[163:164], v[179:180], v[167:168]
	v_mul_f64 v[119:120], v[119:120], s[34:35]
	v_mul_f64 v[117:118], v[117:118], s[34:35]
	v_add_f64 v[151:152], v[151:152], v[169:170]
	v_add_f64 v[167:168], v[181:182], v[171:172]
	v_fma_f64 v[169:170], v[113:114], s[12:13], v[129:130]
	v_fma_f64 v[171:172], v[111:112], s[12:13], -v[127:128]
	v_fma_f64 v[113:114], v[113:114], s[12:13], -v[129:130]
	v_fma_f64 v[111:112], v[111:112], s[12:13], v[127:128]
	v_mul_f64 v[127:128], v[107:108], s[46:47]
	v_add_f64 v[83:84], v[125:126], v[83:84]
	v_mul_f64 v[125:126], v[109:110], s[46:47]
	v_mul_f64 v[109:110], v[109:110], s[30:31]
	v_add_f64 v[123:124], v[123:124], v[177:178]
	v_add_f64 v[101:102], v[121:122], v[101:102]
	;; [unrolled: 1-line block ×3, first 2 shown]
	v_fma_f64 v[115:116], v[105:106], s[8:9], v[157:158]
	v_add_f64 v[121:122], v[141:142], v[143:144]
	v_fma_f64 v[129:130], v[103:104], s[8:9], -v[147:148]
	v_fma_f64 v[143:144], v[105:106], s[8:9], -v[157:158]
	v_fma_f64 v[147:148], v[103:104], s[8:9], v[147:148]
	v_mul_f64 v[107:108], v[107:108], s[30:31]
	v_add_f64 v[141:142], v[161:162], v[163:164]
	v_fma_f64 v[157:158], v[105:106], s[28:29], v[119:120]
	v_fma_f64 v[161:162], v[103:104], s[28:29], -v[117:118]
	v_add_f64 v[145:146], v[145:146], v[151:152]
	v_fma_f64 v[105:106], v[105:106], s[28:29], -v[119:120]
	v_fma_f64 v[103:104], v[103:104], s[28:29], v[117:118]
	v_fma_f64 v[135:136], v[53:54], s[28:29], v[135:136]
	v_add_f64 v[151:152], v[165:166], v[167:168]
	v_mul_f64 v[139:140], v[73:74], s[18:19]
	v_fma_f64 v[117:118], v[91:92], s[14:15], -v[127:128]
	v_add_f64 v[83:84], v[113:114], v[83:84]
	v_mul_f64 v[113:114], v[97:98], s[44:45]
	v_mul_f64 v[97:98], v[97:98], s[26:27]
	v_add_f64 v[111:112], v[111:112], v[123:124]
	v_add_f64 v[89:90], v[101:102], v[89:90]
	;; [unrolled: 1-line block ×3, first 2 shown]
	v_fma_f64 v[99:100], v[93:94], s[14:15], v[125:126]
	v_add_f64 v[101:102], v[115:116], v[121:122]
	v_mul_f64 v[115:116], v[95:96], s[44:45]
	v_fma_f64 v[121:122], v[93:94], s[14:15], -v[125:126]
	v_fma_f64 v[125:126], v[91:92], s[14:15], v[127:128]
	v_mul_f64 v[95:96], v[95:96], s[26:27]
	v_add_f64 v[119:120], v[129:130], v[141:142]
	v_fma_f64 v[129:130], v[93:94], s[24:25], v[109:110]
	v_fma_f64 v[93:94], v[93:94], s[24:25], -v[109:110]
	v_add_f64 v[123:124], v[143:144], v[145:146]
	v_fma_f64 v[143:144], v[91:92], s[24:25], -v[107:108]
	v_fma_f64 v[91:92], v[91:92], s[24:25], v[107:108]
	v_add_f64 v[1:2], v[193:194], v[233:234]
	v_add_f64 v[127:128], v[147:148], v[151:152]
	v_fma_f64 v[81:82], v[13:14], s[14:15], -v[139:140]
	v_fma_f64 v[37:38], v[13:14], s[12:13], -v[249:250]
	v_add_f64 v[83:84], v[105:106], v[83:84]
	v_mul_f64 v[105:106], v[85:86], s[42:43]
	v_fma_f64 v[109:110], v[77:78], s[24:25], -v[113:114]
	v_add_f64 v[103:104], v[103:104], v[111:112]
	v_add_f64 v[57:58], v[89:90], v[57:58]
	;; [unrolled: 1-line block ×3, first 2 shown]
	v_fma_f64 v[87:88], v[77:78], s[24:25], v[113:114]
	v_add_f64 v[89:90], v[99:100], v[101:102]
	v_mul_f64 v[99:100], v[79:80], s[42:43]
	v_fma_f64 v[101:102], v[75:76], s[24:25], -v[115:116]
	v_fma_f64 v[113:114], v[75:76], s[24:25], v[115:116]
	v_mul_f64 v[85:86], v[85:86], s[18:19]
	v_add_f64 v[107:108], v[117:118], v[119:120]
	v_mul_f64 v[79:80], v[79:80], s[18:19]
	v_fma_f64 v[117:118], v[77:78], s[22:23], v[97:98]
	v_add_f64 v[111:112], v[121:122], v[123:124]
	v_fma_f64 v[121:122], v[75:76], s[22:23], -v[95:96]
	v_fma_f64 v[75:76], v[75:76], s[22:23], v[95:96]
	v_fma_f64 v[77:78], v[77:78], s[22:23], -v[97:98]
	v_add_f64 v[115:116], v[125:126], v[127:128]
	v_add_f64 v[153:154], v[153:154], v[173:174]
	;; [unrolled: 1-line block ×4, first 2 shown]
	v_mul_f64 v[93:94], v[71:72], s[40:41]
	v_mul_f64 v[71:72], v[71:72], s[16:17]
	v_fma_f64 v[97:98], v[69:70], s[12:13], -v[105:106]
	v_add_f64 v[57:58], v[57:58], v[61:62]
	v_add_f64 v[61:62], v[67:68], v[65:66]
	v_fma_f64 v[65:66], v[69:70], s[12:13], v[105:106]
	v_add_f64 v[67:68], v[87:88], v[89:90]
	v_fma_f64 v[89:90], v[53:54], s[12:13], -v[99:100]
	v_fma_f64 v[99:100], v[53:54], s[12:13], v[99:100]
	v_add_f64 v[91:92], v[91:92], v[103:104]
	v_fma_f64 v[105:106], v[69:70], s[14:15], v[85:86]
	v_add_f64 v[95:96], v[101:102], v[107:108]
	v_fma_f64 v[69:70], v[69:70], s[14:15], -v[85:86]
	v_mul_f64 v[87:88], v[73:74], s[40:41]
	v_add_f64 v[101:102], v[109:110], v[111:112]
	v_fma_f64 v[109:110], v[53:54], s[14:15], -v[79:80]
	v_fma_f64 v[53:54], v[53:54], s[14:15], v[79:80]
	v_mul_f64 v[73:74], v[73:74], s[16:17]
	v_add_f64 v[103:104], v[113:114], v[115:116]
	v_add_f64 v[9:10], v[37:38], v[225:226]
	;; [unrolled: 1-line block ×4, first 2 shown]
	v_fma_f64 v[79:80], v[45:46], s[6:7], v[93:94]
	v_add_f64 v[83:84], v[133:134], v[149:150]
	v_add_f64 v[153:154], v[169:170], v[153:154]
	;; [unrolled: 1-line block ×4, first 2 shown]
	v_fma_f64 v[61:62], v[13:14], s[14:15], v[139:140]
	v_add_f64 v[65:66], v[65:66], v[67:68]
	v_add_f64 v[63:64], v[135:136], v[155:156]
	;; [unrolled: 1-line block ×6, first 2 shown]
	v_fma_f64 v[89:90], v[45:46], s[6:7], -v[93:94]
	v_fma_f64 v[95:96], v[45:46], s[8:9], v[71:72]
	v_fma_f64 v[45:46], v[45:46], s[8:9], -v[71:72]
	buffer_load_dword v71, off, s[64:67], 0 ; 4-byte Folded Reload
	v_fma_f64 v[67:68], v[13:14], s[6:7], -v[87:88]
	v_fma_f64 v[87:88], v[13:14], s[6:7], v[87:88]
	v_add_f64 v[93:94], v[99:100], v[103:104]
	v_mov_b32_e32 v103, 0x227
	v_fma_f64 v[99:100], v[13:14], s[8:9], -v[73:74]
	v_add_f64 v[69:70], v[69:70], v[77:78]
	v_fma_f64 v[73:74], v[13:14], s[8:9], v[73:74]
	v_add_f64 v[13:14], v[81:82], v[131:132]
	v_mul_u32_u24_sdwa v0, v0, v103 dst_sel:DWORD dst_unused:UNUSED_PAD src0_sel:WORD_0 src1_sel:DWORD
	v_add_f64 v[49:50], v[49:50], v[59:60]
	v_add_f64 v[77:78], v[57:58], v[55:56]
	v_add_f64 v[55:56], v[137:138], v[83:84]
	v_add_f64 v[59:60], v[79:80], v[65:66]
	v_lshrrev_b32_e32 v0, 16, v0
	v_add_f64 v[91:92], v[97:98], v[101:102]
	v_add_f64 v[75:76], v[53:54], v[75:76]
	;; [unrolled: 1-line block ×4, first 2 shown]
	v_mul_lo_u16 v0, 0x121, v0
	v_add_f64 v[145:146], v[161:162], v[159:160]
	v_add_f64 v[3:4], v[191:192], v[219:220]
	;; [unrolled: 1-line block ×3, first 2 shown]
	v_add_nc_u32_sdwa v84, v255, v0 dst_sel:DWORD dst_unused:UNUSED_PAD src0_sel:BYTE_0 src1_sel:WORD_0
	v_add_f64 v[61:62], v[87:88], v[93:94]
	v_mad_u64_u32 v[79:80], null, s0, v84, 0
	v_add_f64 v[49:50], v[49:50], v[51:52]
	v_add_f64 v[47:48], v[77:78], v[47:48]
	v_add_nc_u32_e32 v78, 34, v84
	v_add_f64 v[63:64], v[89:90], v[91:92]
	v_add_f64 v[119:120], v[129:130], v[141:142]
	;; [unrolled: 1-line block ×9, first 2 shown]
	s_waitcnt vmcnt(0)
	v_mad_u64_u32 v[81:82], null, s2, v71, 0
	v_mov_b32_e32 v0, v82
	v_mad_u64_u32 v[82:83], null, s3, v71, v[0:1]
	v_add_f64 v[71:72], v[45:46], v[69:70]
	v_add_f64 v[69:70], v[73:74], v[75:76]
	v_add_nc_u32_e32 v73, 17, v84
	v_mov_b32_e32 v0, v80
	s_lshl_b64 s[2:3], s[20:21], 4
	s_add_u32 s6, s10, s2
	v_mad_u64_u32 v[51:52], null, s0, v73, 0
	v_mad_u64_u32 v[45:46], null, s1, v84, v[0:1]
	s_addc_u32 s7, s11, s3
	s_lshl_b64 s[2:3], s[4:5], 4
	s_add_u32 s2, s6, s2
	v_mov_b32_e32 v0, v52
	s_addc_u32 s3, s7, s3
	v_mov_b32_e32 v80, v45
	v_lshlrev_b64 v[45:46], 4, v[81:82]
	v_add_nc_u32_e32 v81, 51, v84
	v_mad_u64_u32 v[73:74], null, s1, v73, v[0:1]
	v_mad_u64_u32 v[74:75], null, s0, v78, 0
	v_add_co_u32 v82, vcc_lo, s2, v45
	v_mad_u64_u32 v[76:77], null, s0, v81, 0
	v_mov_b32_e32 v52, v73
	v_add_co_ci_u32_e32 v83, vcc_lo, s3, v46, vcc_lo
	v_lshlrev_b64 v[45:46], 4, v[79:80]
	v_mov_b32_e32 v0, v75
	v_lshlrev_b64 v[51:52], 4, v[51:52]
	v_add_nc_u32_e32 v73, 0x44, v84
	v_add_co_u32 v45, vcc_lo, v82, v45
	v_mad_u64_u32 v[78:79], null, s1, v78, v[0:1]
	v_mov_b32_e32 v0, v77
	v_add_co_ci_u32_e32 v46, vcc_lo, v83, v46, vcc_lo
	v_add_co_u32 v51, vcc_lo, v82, v51
	v_add_co_ci_u32_e32 v52, vcc_lo, v83, v52, vcc_lo
	v_mad_u64_u32 v[79:80], null, s1, v81, v[0:1]
	v_mad_u64_u32 v[80:81], null, s0, v73, 0
	global_store_dwordx4 v[45:46], v[47:50], off
	global_store_dwordx4 v[51:52], v[69:72], off
	v_add_nc_u32_e32 v69, 0x55, v84
	v_mov_b32_e32 v75, v78
	v_mov_b32_e32 v77, v79
	v_add_nc_u32_e32 v70, 0x66, v84
	v_mov_b32_e32 v0, v81
	v_mad_u64_u32 v[47:48], null, s0, v69, 0
	v_lshlrev_b64 v[45:46], 4, v[74:75]
	v_lshlrev_b64 v[49:50], 4, v[76:77]
	v_mad_u64_u32 v[51:52], null, s1, v73, v[0:1]
	v_add_co_u32 v45, vcc_lo, v82, v45
	v_mov_b32_e32 v0, v48
	v_add_co_ci_u32_e32 v46, vcc_lo, v83, v46, vcc_lo
	v_add_co_u32 v48, vcc_lo, v82, v49
	v_add_co_ci_u32_e32 v49, vcc_lo, v83, v50, vcc_lo
	v_mov_b32_e32 v81, v51
	v_mad_u64_u32 v[50:51], null, s1, v69, v[0:1]
	v_mad_u64_u32 v[51:52], null, s0, v70, 0
	global_store_dwordx4 v[45:46], v[61:64], off
	global_store_dwordx4 v[48:49], v[53:56], off
	v_add_nc_u32_e32 v55, 0x77, v84
	v_lshlrev_b64 v[45:46], 4, v[80:81]
	v_mov_b32_e32 v48, v50
	v_mov_b32_e32 v0, v52
	v_mad_u64_u32 v[53:54], null, s0, v55, 0
	v_lshlrev_b64 v[47:48], 4, v[47:48]
	v_add_co_u32 v45, vcc_lo, v82, v45
	v_mad_u64_u32 v[49:50], null, s1, v70, v[0:1]
	v_add_co_ci_u32_e32 v46, vcc_lo, v83, v46, vcc_lo
	v_add_co_u32 v47, vcc_lo, v82, v47
	v_add_co_ci_u32_e32 v48, vcc_lo, v83, v48, vcc_lo
	v_mov_b32_e32 v0, v54
	global_store_dwordx4 v[45:46], v[41:44], off
	v_mov_b32_e32 v52, v49
	v_add_nc_u32_e32 v44, 0x88, v84
	global_store_dwordx4 v[47:48], v[37:40], off
	v_mad_u64_u32 v[39:40], null, s1, v55, v[0:1]
	v_lshlrev_b64 v[37:38], 4, v[51:52]
	v_mad_u64_u32 v[40:41], null, s0, v44, 0
	v_add_nc_u32_e32 v45, 0x99, v84
	v_add_nc_u32_e32 v46, 0xaa, v84
	v_add_co_u32 v37, vcc_lo, v82, v37
	v_add_co_ci_u32_e32 v38, vcc_lo, v83, v38, vcc_lo
	v_mov_b32_e32 v0, v41
	v_mov_b32_e32 v54, v39
	v_mad_u64_u32 v[42:43], null, s0, v45, 0
	global_store_dwordx4 v[37:38], v[33:36], off
	v_mad_u64_u32 v[35:36], null, s1, v44, v[0:1]
	v_lshlrev_b64 v[33:34], 4, v[53:54]
	v_mad_u64_u32 v[36:37], null, s0, v46, 0
	v_mov_b32_e32 v0, v43
	v_mov_b32_e32 v41, v35
	v_add_nc_u32_e32 v35, 0xbb, v84
	v_add_co_u32 v33, vcc_lo, v82, v33
	v_add_co_ci_u32_e32 v34, vcc_lo, v83, v34, vcc_lo
	v_mad_u64_u32 v[38:39], null, s1, v45, v[0:1]
	v_mov_b32_e32 v0, v37
	v_mad_u64_u32 v[44:45], null, s0, v35, 0
	global_store_dwordx4 v[33:34], v[29:32], off
	v_lshlrev_b64 v[29:30], 4, v[40:41]
	v_mad_u64_u32 v[31:32], null, s1, v46, v[0:1]
	v_mov_b32_e32 v43, v38
	v_mov_b32_e32 v0, v45
	v_add_co_u32 v29, vcc_lo, v82, v29
	v_add_co_ci_u32_e32 v30, vcc_lo, v83, v30, vcc_lo
	v_mov_b32_e32 v37, v31
	v_lshlrev_b64 v[31:32], 4, v[42:43]
	v_mad_u64_u32 v[33:34], null, s1, v35, v[0:1]
	v_add_nc_u32_e32 v34, 0xcc, v84
	global_store_dwordx4 v[29:30], v[25:28], off
	v_lshlrev_b64 v[25:26], 4, v[36:37]
	v_add_co_u32 v27, vcc_lo, v82, v31
	v_mad_u64_u32 v[29:30], null, s0, v34, 0
	v_add_co_ci_u32_e32 v28, vcc_lo, v83, v32, vcc_lo
	v_mov_b32_e32 v45, v33
	v_add_co_u32 v25, vcc_lo, v82, v25
	v_add_co_ci_u32_e32 v26, vcc_lo, v83, v26, vcc_lo
	v_lshlrev_b64 v[31:32], 4, v[44:45]
	v_mov_b32_e32 v0, v30
	global_store_dwordx4 v[27:28], v[17:20], off
	global_store_dwordx4 v[25:26], v[21:24], off
	v_add_nc_u32_e32 v22, 0xdd, v84
	v_add_nc_u32_e32 v23, 0xee, v84
	;; [unrolled: 1-line block ×3, first 2 shown]
	v_add_co_u32 v17, vcc_lo, v82, v31
	v_mad_u64_u32 v[19:20], null, s1, v34, v[0:1]
	v_mad_u64_u32 v[20:21], null, s0, v22, 0
	v_add_co_ci_u32_e32 v18, vcc_lo, v83, v32, vcc_lo
	v_mov_b32_e32 v30, v19
	global_store_dwordx4 v[17:18], v[9:12], off
	v_mad_u64_u32 v[9:10], null, s0, v23, 0
	v_mad_u64_u32 v[11:12], null, s0, v25, 0
	v_mov_b32_e32 v0, v21
	v_add_nc_u32_e32 v19, 0x110, v84
	v_lshlrev_b64 v[17:18], 4, v[29:30]
	v_mad_u64_u32 v[21:22], null, s1, v22, v[0:1]
	v_mad_u64_u32 v[22:23], null, s1, v23, v[10:11]
	;; [unrolled: 1-line block ×3, first 2 shown]
	v_mov_b32_e32 v0, v12
	v_add_co_u32 v17, vcc_lo, v82, v17
	v_add_co_ci_u32_e32 v18, vcc_lo, v83, v18, vcc_lo
	v_mov_b32_e32 v10, v22
	v_mad_u64_u32 v[25:26], null, s1, v25, v[0:1]
	v_mov_b32_e32 v0, v24
	global_store_dwordx4 v[17:18], v[5:8], off
	v_lshlrev_b64 v[7:8], 4, v[9:10]
	v_lshlrev_b64 v[5:6], 4, v[20:21]
	v_mad_u64_u32 v[9:10], null, s1, v19, v[0:1]
	v_mov_b32_e32 v12, v25
	v_add_co_u32 v5, vcc_lo, v82, v5
	v_add_co_ci_u32_e32 v6, vcc_lo, v83, v6, vcc_lo
	v_mov_b32_e32 v24, v9
	v_lshlrev_b64 v[10:11], 4, v[11:12]
	v_add_co_u32 v7, vcc_lo, v82, v7
	v_add_co_ci_u32_e32 v8, vcc_lo, v83, v8, vcc_lo
	v_lshlrev_b64 v[17:18], 4, v[23:24]
	v_add_co_u32 v9, vcc_lo, v82, v10
	v_add_co_ci_u32_e32 v10, vcc_lo, v83, v11, vcc_lo
	v_add_co_u32 v11, vcc_lo, v82, v17
	v_add_co_ci_u32_e32 v12, vcc_lo, v83, v18, vcc_lo
	global_store_dwordx4 v[5:6], v[1:4], off
	global_store_dwordx4 v[7:8], v[13:16], off
	;; [unrolled: 1-line block ×4, first 2 shown]
.LBB0_16:
	s_endpgm
	.section	.rodata,"a",@progbits
	.p2align	6, 0x0
	.amdhsa_kernel fft_rtc_back_len289_factors_17_17_wgs_119_tpt_17_dp_op_CI_CI_sbcc_dirReg
		.amdhsa_group_segment_fixed_size 0
		.amdhsa_private_segment_fixed_size 24
		.amdhsa_kernarg_size 112
		.amdhsa_user_sgpr_count 6
		.amdhsa_user_sgpr_private_segment_buffer 1
		.amdhsa_user_sgpr_dispatch_ptr 0
		.amdhsa_user_sgpr_queue_ptr 0
		.amdhsa_user_sgpr_kernarg_segment_ptr 1
		.amdhsa_user_sgpr_dispatch_id 0
		.amdhsa_user_sgpr_flat_scratch_init 0
		.amdhsa_user_sgpr_private_segment_size 0
		.amdhsa_wavefront_size32 1
		.amdhsa_uses_dynamic_stack 0
		.amdhsa_system_sgpr_private_segment_wavefront_offset 1
		.amdhsa_system_sgpr_workgroup_id_x 1
		.amdhsa_system_sgpr_workgroup_id_y 0
		.amdhsa_system_sgpr_workgroup_id_z 0
		.amdhsa_system_sgpr_workgroup_info 0
		.amdhsa_system_vgpr_workitem_id 0
		.amdhsa_next_free_vgpr 256
		.amdhsa_next_free_sgpr 68
		.amdhsa_reserve_vcc 1
		.amdhsa_reserve_flat_scratch 0
		.amdhsa_float_round_mode_32 0
		.amdhsa_float_round_mode_16_64 0
		.amdhsa_float_denorm_mode_32 3
		.amdhsa_float_denorm_mode_16_64 3
		.amdhsa_dx10_clamp 1
		.amdhsa_ieee_mode 1
		.amdhsa_fp16_overflow 0
		.amdhsa_workgroup_processor_mode 1
		.amdhsa_memory_ordered 1
		.amdhsa_forward_progress 0
		.amdhsa_shared_vgpr_count 0
		.amdhsa_exception_fp_ieee_invalid_op 0
		.amdhsa_exception_fp_denorm_src 0
		.amdhsa_exception_fp_ieee_div_zero 0
		.amdhsa_exception_fp_ieee_overflow 0
		.amdhsa_exception_fp_ieee_underflow 0
		.amdhsa_exception_fp_ieee_inexact 0
		.amdhsa_exception_int_div_zero 0
	.end_amdhsa_kernel
	.text
.Lfunc_end0:
	.size	fft_rtc_back_len289_factors_17_17_wgs_119_tpt_17_dp_op_CI_CI_sbcc_dirReg, .Lfunc_end0-fft_rtc_back_len289_factors_17_17_wgs_119_tpt_17_dp_op_CI_CI_sbcc_dirReg
                                        ; -- End function
	.section	.AMDGPU.csdata,"",@progbits
; Kernel info:
; codeLenInByte = 16740
; NumSgprs: 70
; NumVgprs: 256
; ScratchSize: 24
; MemoryBound: 1
; FloatMode: 240
; IeeeMode: 1
; LDSByteSize: 0 bytes/workgroup (compile time only)
; SGPRBlocks: 8
; VGPRBlocks: 31
; NumSGPRsForWavesPerEU: 70
; NumVGPRsForWavesPerEU: 256
; Occupancy: 4
; WaveLimiterHint : 1
; COMPUTE_PGM_RSRC2:SCRATCH_EN: 1
; COMPUTE_PGM_RSRC2:USER_SGPR: 6
; COMPUTE_PGM_RSRC2:TRAP_HANDLER: 0
; COMPUTE_PGM_RSRC2:TGID_X_EN: 1
; COMPUTE_PGM_RSRC2:TGID_Y_EN: 0
; COMPUTE_PGM_RSRC2:TGID_Z_EN: 0
; COMPUTE_PGM_RSRC2:TIDIG_COMP_CNT: 0
	.text
	.p2alignl 6, 3214868480
	.fill 48, 4, 3214868480
	.type	__hip_cuid_4628622988a96499,@object ; @__hip_cuid_4628622988a96499
	.section	.bss,"aw",@nobits
	.globl	__hip_cuid_4628622988a96499
__hip_cuid_4628622988a96499:
	.byte	0                               ; 0x0
	.size	__hip_cuid_4628622988a96499, 1

	.ident	"AMD clang version 19.0.0git (https://github.com/RadeonOpenCompute/llvm-project roc-6.4.0 25133 c7fe45cf4b819c5991fe208aaa96edf142730f1d)"
	.section	".note.GNU-stack","",@progbits
	.addrsig
	.addrsig_sym __hip_cuid_4628622988a96499
	.amdgpu_metadata
---
amdhsa.kernels:
  - .args:
      - .actual_access:  read_only
        .address_space:  global
        .offset:         0
        .size:           8
        .value_kind:     global_buffer
      - .address_space:  global
        .offset:         8
        .size:           8
        .value_kind:     global_buffer
      - .offset:         16
        .size:           8
        .value_kind:     by_value
      - .actual_access:  read_only
        .address_space:  global
        .offset:         24
        .size:           8
        .value_kind:     global_buffer
      - .actual_access:  read_only
        .address_space:  global
        .offset:         32
        .size:           8
        .value_kind:     global_buffer
      - .actual_access:  read_only
        .address_space:  global
        .offset:         40
        .size:           8
        .value_kind:     global_buffer
      - .offset:         48
        .size:           8
        .value_kind:     by_value
      - .actual_access:  read_only
        .address_space:  global
        .offset:         56
        .size:           8
        .value_kind:     global_buffer
      - .actual_access:  read_only
        .address_space:  global
        .offset:         64
        .size:           8
        .value_kind:     global_buffer
      - .offset:         72
        .size:           4
        .value_kind:     by_value
      - .actual_access:  read_only
        .address_space:  global
        .offset:         80
        .size:           8
        .value_kind:     global_buffer
      - .actual_access:  read_only
        .address_space:  global
        .offset:         88
        .size:           8
        .value_kind:     global_buffer
      - .actual_access:  read_only
        .address_space:  global
        .offset:         96
        .size:           8
        .value_kind:     global_buffer
      - .actual_access:  write_only
        .address_space:  global
        .offset:         104
        .size:           8
        .value_kind:     global_buffer
    .group_segment_fixed_size: 0
    .kernarg_segment_align: 8
    .kernarg_segment_size: 112
    .language:       OpenCL C
    .language_version:
      - 2
      - 0
    .max_flat_workgroup_size: 119
    .name:           fft_rtc_back_len289_factors_17_17_wgs_119_tpt_17_dp_op_CI_CI_sbcc_dirReg
    .private_segment_fixed_size: 24
    .sgpr_count:     70
    .sgpr_spill_count: 0
    .symbol:         fft_rtc_back_len289_factors_17_17_wgs_119_tpt_17_dp_op_CI_CI_sbcc_dirReg.kd
    .uniform_work_group_size: 1
    .uses_dynamic_stack: false
    .vgpr_count:     256
    .vgpr_spill_count: 5
    .wavefront_size: 32
    .workgroup_processor_mode: 1
amdhsa.target:   amdgcn-amd-amdhsa--gfx1030
amdhsa.version:
  - 1
  - 2
...

	.end_amdgpu_metadata
